;; amdgpu-corpus repo=pytorch/pytorch kind=compiled arch=gfx950 opt=O3
	.amdgcn_target "amdgcn-amd-amdhsa--gfx950"
	.amdhsa_code_object_version 6
	.section	.text._ZN7rocprim17ROCPRIM_304000_NS6detail28radix_sort_block_sort_kernelINS1_36wrapped_radix_sort_block_sort_configINS0_13kernel_configILj256ELj4ELj4294967295EEEiN2at4cuda3cub6detail10OpaqueTypeILi4EEEEELb1EPKiPiPKSB_PSB_NS0_19identity_decomposerEEEvT1_T2_T3_T4_jT5_jj,"axG",@progbits,_ZN7rocprim17ROCPRIM_304000_NS6detail28radix_sort_block_sort_kernelINS1_36wrapped_radix_sort_block_sort_configINS0_13kernel_configILj256ELj4ELj4294967295EEEiN2at4cuda3cub6detail10OpaqueTypeILi4EEEEELb1EPKiPiPKSB_PSB_NS0_19identity_decomposerEEEvT1_T2_T3_T4_jT5_jj,comdat
	.protected	_ZN7rocprim17ROCPRIM_304000_NS6detail28radix_sort_block_sort_kernelINS1_36wrapped_radix_sort_block_sort_configINS0_13kernel_configILj256ELj4ELj4294967295EEEiN2at4cuda3cub6detail10OpaqueTypeILi4EEEEELb1EPKiPiPKSB_PSB_NS0_19identity_decomposerEEEvT1_T2_T3_T4_jT5_jj ; -- Begin function _ZN7rocprim17ROCPRIM_304000_NS6detail28radix_sort_block_sort_kernelINS1_36wrapped_radix_sort_block_sort_configINS0_13kernel_configILj256ELj4ELj4294967295EEEiN2at4cuda3cub6detail10OpaqueTypeILi4EEEEELb1EPKiPiPKSB_PSB_NS0_19identity_decomposerEEEvT1_T2_T3_T4_jT5_jj
	.globl	_ZN7rocprim17ROCPRIM_304000_NS6detail28radix_sort_block_sort_kernelINS1_36wrapped_radix_sort_block_sort_configINS0_13kernel_configILj256ELj4ELj4294967295EEEiN2at4cuda3cub6detail10OpaqueTypeILi4EEEEELb1EPKiPiPKSB_PSB_NS0_19identity_decomposerEEEvT1_T2_T3_T4_jT5_jj
	.p2align	8
	.type	_ZN7rocprim17ROCPRIM_304000_NS6detail28radix_sort_block_sort_kernelINS1_36wrapped_radix_sort_block_sort_configINS0_13kernel_configILj256ELj4ELj4294967295EEEiN2at4cuda3cub6detail10OpaqueTypeILi4EEEEELb1EPKiPiPKSB_PSB_NS0_19identity_decomposerEEEvT1_T2_T3_T4_jT5_jj,@function
_ZN7rocprim17ROCPRIM_304000_NS6detail28radix_sort_block_sort_kernelINS1_36wrapped_radix_sort_block_sort_configINS0_13kernel_configILj256ELj4ELj4294967295EEEiN2at4cuda3cub6detail10OpaqueTypeILi4EEEEELb1EPKiPiPKSB_PSB_NS0_19identity_decomposerEEEvT1_T2_T3_T4_jT5_jj: ; @_ZN7rocprim17ROCPRIM_304000_NS6detail28radix_sort_block_sort_kernelINS1_36wrapped_radix_sort_block_sort_configINS0_13kernel_configILj256ELj4ELj4294967295EEEiN2at4cuda3cub6detail10OpaqueTypeILi4EEEEELb1EPKiPiPKSB_PSB_NS0_19identity_decomposerEEEvT1_T2_T3_T4_jT5_jj
; %bb.0:
	s_load_dword s8, s[0:1], 0x20
	s_load_dwordx8 s[36:43], s[0:1], 0x0
	s_lshl_b32 s4, s2, 10
	s_mov_b32 s5, 0
	v_and_b32_e32 v8, 0x3ff, v0
	s_waitcnt lgkmcnt(0)
	s_lshr_b32 s3, s8, 10
	s_cmp_lg_u32 s2, s3
	s_cselect_b64 s[30:31], -1, 0
	s_lshl_b64 s[28:29], s[4:5], 2
	v_mbcnt_lo_u32_b32 v1, -1, 0
	s_add_u32 s6, s36, s28
	v_mbcnt_hi_u32_b32 v1, -1, v1
	v_lshlrev_b32_e32 v6, 2, v8
	s_addc_u32 s7, s37, s29
	v_and_b32_e32 v7, 0x300, v6
	v_mov_b32_e32 v13, 0
	v_lshlrev_b32_e32 v12, 2, v1
	v_lshl_add_u64 v[2:3], s[6:7], 0, v[12:13]
	v_lshlrev_b32_e32 v10, 2, v7
	v_mov_b32_e32 v11, v13
	s_cmp_eq_u32 s2, s3
	v_lshl_add_u64 v[14:15], v[2:3], 0, v[10:11]
	s_cbranch_scc1 .LBB0_2
; %bb.1:
	s_add_u32 s2, s40, s28
	s_addc_u32 s3, s41, s29
	v_lshl_add_u64 v[16:17], s[2:3], 0, v[12:13]
	global_load_dword v2, v[14:15], off
	global_load_dword v3, v[14:15], off offset:256
	global_load_dword v4, v[14:15], off offset:512
	global_load_dword v5, v[14:15], off offset:768
	v_lshl_add_u64 v[16:17], v[16:17], 0, v[10:11]
	global_load_dword v30, v[16:17], off
	global_load_dword v31, v[16:17], off offset:256
	global_load_dword v32, v[16:17], off offset:512
	s_mov_b64 s[6:7], -1
	s_sub_i32 s33, s8, s4
	s_cbranch_execz .LBB0_3
	s_branch .LBB0_16
.LBB0_2:
	s_mov_b64 s[6:7], 0
                                        ; implicit-def: $vgpr2_vgpr3_vgpr4_vgpr5
                                        ; implicit-def: $vgpr30
                                        ; implicit-def: $vgpr32
	s_sub_i32 s33, s8, s4
.LBB0_3:
	v_add_u32_e32 v7, v1, v7
	s_waitcnt vmcnt(6)
	v_bfrev_b32_e32 v2, 1
	v_cmp_gt_u32_e32 vcc, s33, v7
	s_waitcnt vmcnt(5)
	v_mov_b32_e32 v3, v2
	s_waitcnt vmcnt(4)
	v_mov_b32_e32 v4, v2
	;; [unrolled: 2-line block ×3, first 2 shown]
	s_and_saveexec_b64 s[2:3], vcc
	s_cbranch_execz .LBB0_5
; %bb.4:
	global_load_dword v16, v[14:15], off
	v_mov_b32_e32 v17, v2
	v_mov_b32_e32 v18, v2
	;; [unrolled: 1-line block ×3, first 2 shown]
	s_waitcnt vmcnt(0)
	v_mov_b64_e32 v[2:3], v[16:17]
	v_mov_b64_e32 v[4:5], v[18:19]
.LBB0_5:
	s_or_b64 exec, exec, s[2:3]
	v_add_u32_e32 v9, 64, v7
	v_cmp_gt_u32_e64 s[2:3], s33, v9
	s_and_saveexec_b64 s[4:5], s[2:3]
	s_cbranch_execz .LBB0_7
; %bb.6:
	global_load_dword v3, v[14:15], off offset:256
.LBB0_7:
	s_or_b64 exec, exec, s[4:5]
	v_add_u32_e32 v9, 0x80, v7
	v_cmp_gt_u32_e64 s[4:5], s33, v9
	s_and_saveexec_b64 s[6:7], s[4:5]
	s_cbranch_execz .LBB0_9
; %bb.8:
	global_load_dword v4, v[14:15], off offset:512
.LBB0_9:
	s_or_b64 exec, exec, s[6:7]
	v_add_u32_e32 v7, 0xc0, v7
	v_cmp_gt_u32_e64 s[6:7], s33, v7
	s_and_saveexec_b64 s[8:9], s[6:7]
	s_cbranch_execz .LBB0_11
; %bb.10:
	global_load_dword v5, v[14:15], off offset:768
.LBB0_11:
	s_or_b64 exec, exec, s[8:9]
	s_add_u32 s8, s40, s28
	s_addc_u32 s9, s41, s29
	v_mov_b32_e32 v13, 0
	v_lshl_add_u64 v[14:15], s[8:9], 0, v[12:13]
	v_mov_b32_e32 v11, v13
	v_lshl_add_u64 v[14:15], v[14:15], 0, v[10:11]
                                        ; implicit-def: $vgpr30
	s_and_saveexec_b64 s[8:9], vcc
	s_cbranch_execnz .LBB0_55
; %bb.12:
	s_or_b64 exec, exec, s[8:9]
	s_and_saveexec_b64 s[8:9], s[2:3]
	s_cbranch_execnz .LBB0_56
.LBB0_13:
	s_or_b64 exec, exec, s[8:9]
                                        ; implicit-def: $vgpr32
	s_and_saveexec_b64 s[2:3], s[4:5]
	s_cbranch_execz .LBB0_15
.LBB0_14:
	global_load_dword v32, v[14:15], off offset:512
.LBB0_15:
	s_or_b64 exec, exec, s[2:3]
.LBB0_16:
	s_and_saveexec_b64 s[2:3], s[6:7]
	s_cbranch_execz .LBB0_18
; %bb.17:
	s_add_u32 s4, s40, s28
	s_addc_u32 s5, s41, s29
	v_mov_b32_e32 v13, 0
	v_lshl_add_u64 v[14:15], s[4:5], 0, v[12:13]
	v_mov_b32_e32 v11, v13
	v_lshl_add_u64 v[12:13], v[14:15], 0, v[10:11]
	global_load_dword v33, v[12:13], off offset:768
.LBB0_18:
	s_or_b64 exec, exec, s[2:3]
	s_load_dwordx2 s[34:35], s[0:1], 0x28
	s_waitcnt vmcnt(0)
	v_xor_b32_e32 v14, 0x7fffffff, v4
	s_load_dword s0, s[0:1], 0x3c
	v_bfe_u32 v4, v0, 10, 10
	v_bfe_u32 v0, v0, 20, 10
	v_xor_b32_e32 v15, 0x7fffffff, v5
	s_mov_b32 s26, 0
	s_waitcnt lgkmcnt(0)
	s_lshr_b32 s1, s0, 16
	s_and_b32 s0, s0, 0xffff
	v_mad_u32_u24 v0, v0, s1, v4
	v_mad_u64_u32 v[4:5], s[0:1], v0, s0, v[8:9]
	v_lshrrev_b32_e32 v0, 4, v4
	v_and_b32_e32 v9, 0xffffffc, v0
	v_and_b32_e32 v0, 15, v1
	v_cmp_eq_u32_e64 s[0:1], 0, v0
	v_cmp_lt_u32_e64 s[2:3], 1, v0
	v_cmp_lt_u32_e64 s[4:5], 3, v0
	;; [unrolled: 1-line block ×3, first 2 shown]
	v_and_b32_e32 v0, 16, v1
	v_cmp_eq_u32_e64 s[8:9], 0, v0
	v_and_b32_e32 v0, 0x3c0, v8
	v_min_u32_e32 v0, 0xc0, v0
	v_or_b32_e32 v0, 63, v0
	v_cmp_eq_u32_e64 s[12:13], v8, v0
	v_subrev_co_u32_e64 v0, s[18:19], 1, v1
	v_and_b32_e32 v4, 64, v1
	v_cmp_lt_i32_e32 vcc, v0, v4
	s_mov_b32 s27, s26
	s_mov_b32 s40, s26
	v_cndmask_b32_e32 v0, v0, v1, vcc
	v_lshlrev_b32_e32 v17, 2, v0
	v_lshrrev_b32_e32 v0, 4, v8
	v_and_b32_e32 v18, 60, v0
	v_and_b32_e32 v0, 3, v1
	s_mov_b32 s41, s26
	v_xor_b32_e32 v2, 0x7fffffff, v2
	v_xor_b32_e32 v3, 0x7fffffff, v3
	s_add_i32 s36, s35, s34
	v_lshlrev_b32_e32 v7, 2, v6
	v_cmp_lt_u32_e64 s[10:11], 31, v1
	v_cmp_gt_u32_e64 s[14:15], 4, v8
	v_cmp_lt_u32_e64 s[16:17], 63, v8
	v_cmp_eq_u32_e64 s[20:21], 0, v8
	v_mul_i32_i24_e32 v16, -12, v8
	v_cmp_eq_u32_e64 s[22:23], 0, v0
	v_cmp_lt_u32_e64 s[24:25], 1, v0
	v_add_u32_e32 v19, -4, v18
	v_lshl_add_u32 v20, v1, 2, v10
	v_mov_b64_e32 v[4:5], s[26:27]
	v_mov_b64_e32 v[10:11], s[40:41]
	v_mov_b32_e32 v13, 0
	s_branch .LBB0_20
.LBB0_19:                               ;   in Loop: Header=BB0_20 Depth=1
	s_andn2_b64 vcc, exec, s[26:27]
	s_mov_b32 s35, s37
	s_cbranch_vccz .LBB0_36
.LBB0_20:                               ; =>This Inner Loop Header: Depth=1
	v_mov_b32_e32 v28, v2
	s_min_u32 s26, s35, 8
	s_lshl_b32 s37, -1, s26
	v_lshrrev_b32_e32 v0, s34, v28
	v_bitop3_b32 v2, v0, s37, v0 bitop3:0x30
	v_and_b32_e32 v12, 1, v2
	v_lshl_add_u64 v[0:1], v[12:13], 0, -1
	v_cmp_ne_u32_e32 vcc, 0, v12
	v_mov_b32_e32 v26, v14
	v_mov_b32_e32 v27, v3
	v_xor_b32_e32 v1, vcc_hi, v1
	v_xor_b32_e32 v0, vcc_lo, v0
	v_and_b32_e32 v12, exec_hi, v1
	v_and_b32_e32 v14, exec_lo, v0
	v_lshlrev_b32_e32 v1, 30, v2
	v_mov_b32_e32 v0, v13
	v_cmp_gt_i64_e32 vcc, 0, v[0:1]
	v_not_b32_e32 v0, v1
	v_ashrrev_i32_e32 v0, 31, v0
	v_xor_b32_e32 v1, vcc_hi, v0
	v_xor_b32_e32 v0, vcc_lo, v0
	v_and_b32_e32 v12, v12, v1
	v_and_b32_e32 v14, v14, v0
	v_lshlrev_b32_e32 v1, 29, v2
	v_mov_b32_e32 v0, v13
	v_cmp_gt_i64_e32 vcc, 0, v[0:1]
	v_not_b32_e32 v0, v1
	v_ashrrev_i32_e32 v0, 31, v0
	v_xor_b32_e32 v1, vcc_hi, v0
	v_xor_b32_e32 v0, vcc_lo, v0
	v_and_b32_e32 v12, v12, v1
	v_and_b32_e32 v14, v14, v0
	;; [unrolled: 9-line block ×6, first 2 shown]
	v_lshlrev_b32_e32 v1, 24, v2
	v_mov_b32_e32 v0, v13
	v_cmp_gt_i64_e32 vcc, 0, v[0:1]
	v_not_b32_e32 v0, v1
	v_ashrrev_i32_e32 v0, 31, v0
	v_xor_b32_e32 v1, vcc_hi, v0
	v_xor_b32_e32 v0, vcc_lo, v0
	v_and_b32_e32 v0, v14, v0
	v_lshlrev_b32_e32 v3, 4, v2
	v_and_b32_e32 v1, v12, v1
	v_mbcnt_lo_u32_b32 v2, v0, 0
	v_mbcnt_hi_u32_b32 v14, v1, v2
	v_cmp_eq_u32_e32 vcc, 0, v14
	v_cmp_ne_u64_e64 s[26:27], 0, v[0:1]
	v_mov_b32_e32 v25, v15
	v_mov_b32_e32 v24, v30
	;; [unrolled: 1-line block ×5, first 2 shown]
	s_and_b64 s[40:41], s[26:27], vcc
	v_add_u32_e32 v15, v9, v3
	ds_write2_b64 v7, v[4:5], v[10:11] offset0:2 offset1:3
	s_waitcnt lgkmcnt(0)
	s_barrier
	; wave barrier
	s_and_saveexec_b64 s[26:27], s[40:41]
; %bb.21:                               ;   in Loop: Header=BB0_20 Depth=1
	v_bcnt_u32_b32 v0, v0, 0
	v_bcnt_u32_b32 v0, v1, v0
	ds_write_b32 v15, v0 offset:16
; %bb.22:                               ;   in Loop: Header=BB0_20 Depth=1
	s_or_b64 exec, exec, s[26:27]
	s_not_b32 s37, s37
	v_lshrrev_b32_e32 v0, s34, v27
	v_and_b32_e32 v2, s37, v0
	v_lshlrev_b32_e32 v0, 4, v2
	v_and_b32_e32 v12, 1, v2
	v_add_u32_e32 v30, v9, v0
	v_lshl_add_u64 v[0:1], v[12:13], 0, -1
	v_cmp_ne_u32_e32 vcc, 0, v12
	; wave barrier
	s_nop 1
	v_xor_b32_e32 v1, vcc_hi, v1
	v_xor_b32_e32 v0, vcc_lo, v0
	v_and_b32_e32 v3, exec_hi, v1
	v_and_b32_e32 v12, exec_lo, v0
	v_lshlrev_b32_e32 v1, 30, v2
	v_mov_b32_e32 v0, v13
	v_cmp_gt_i64_e32 vcc, 0, v[0:1]
	v_not_b32_e32 v0, v1
	v_ashrrev_i32_e32 v0, 31, v0
	v_xor_b32_e32 v1, vcc_hi, v0
	v_xor_b32_e32 v0, vcc_lo, v0
	v_and_b32_e32 v3, v3, v1
	v_and_b32_e32 v12, v12, v0
	v_lshlrev_b32_e32 v1, 29, v2
	v_mov_b32_e32 v0, v13
	v_cmp_gt_i64_e32 vcc, 0, v[0:1]
	v_not_b32_e32 v0, v1
	v_ashrrev_i32_e32 v0, 31, v0
	v_xor_b32_e32 v1, vcc_hi, v0
	v_xor_b32_e32 v0, vcc_lo, v0
	v_and_b32_e32 v3, v3, v1
	v_and_b32_e32 v12, v12, v0
	;; [unrolled: 9-line block ×6, first 2 shown]
	v_lshlrev_b32_e32 v1, 24, v2
	v_mov_b32_e32 v0, v13
	v_cmp_gt_i64_e32 vcc, 0, v[0:1]
	v_not_b32_e32 v0, v1
	v_ashrrev_i32_e32 v0, 31, v0
	v_xor_b32_e32 v1, vcc_hi, v0
	v_xor_b32_e32 v0, vcc_lo, v0
	ds_read_b32 v29, v30 offset:16
	v_and_b32_e32 v0, v12, v0
	v_and_b32_e32 v1, v3, v1
	v_mbcnt_lo_u32_b32 v2, v0, 0
	v_mbcnt_hi_u32_b32 v31, v1, v2
	v_cmp_eq_u32_e32 vcc, 0, v31
	v_cmp_ne_u64_e64 s[26:27], 0, v[0:1]
	s_and_b64 s[40:41], s[26:27], vcc
	; wave barrier
	s_and_saveexec_b64 s[26:27], s[40:41]
	s_cbranch_execz .LBB0_24
; %bb.23:                               ;   in Loop: Header=BB0_20 Depth=1
	v_bcnt_u32_b32 v0, v0, 0
	v_bcnt_u32_b32 v0, v1, v0
	s_waitcnt lgkmcnt(0)
	v_add_u32_e32 v0, v29, v0
	ds_write_b32 v30, v0 offset:16
.LBB0_24:                               ;   in Loop: Header=BB0_20 Depth=1
	s_or_b64 exec, exec, s[26:27]
	v_lshrrev_b32_e32 v0, s34, v26
	v_and_b32_e32 v2, s37, v0
	v_lshlrev_b32_e32 v0, 4, v2
	v_and_b32_e32 v12, 1, v2
	v_add_u32_e32 v33, v9, v0
	v_lshl_add_u64 v[0:1], v[12:13], 0, -1
	v_cmp_ne_u32_e32 vcc, 0, v12
	; wave barrier
	s_nop 1
	v_xor_b32_e32 v1, vcc_hi, v1
	v_xor_b32_e32 v0, vcc_lo, v0
	v_and_b32_e32 v3, exec_hi, v1
	v_and_b32_e32 v12, exec_lo, v0
	v_lshlrev_b32_e32 v1, 30, v2
	v_mov_b32_e32 v0, v13
	v_cmp_gt_i64_e32 vcc, 0, v[0:1]
	v_not_b32_e32 v0, v1
	v_ashrrev_i32_e32 v0, 31, v0
	v_xor_b32_e32 v1, vcc_hi, v0
	v_xor_b32_e32 v0, vcc_lo, v0
	v_and_b32_e32 v3, v3, v1
	v_and_b32_e32 v12, v12, v0
	v_lshlrev_b32_e32 v1, 29, v2
	v_mov_b32_e32 v0, v13
	v_cmp_gt_i64_e32 vcc, 0, v[0:1]
	v_not_b32_e32 v0, v1
	v_ashrrev_i32_e32 v0, 31, v0
	v_xor_b32_e32 v1, vcc_hi, v0
	v_xor_b32_e32 v0, vcc_lo, v0
	v_and_b32_e32 v3, v3, v1
	v_and_b32_e32 v12, v12, v0
	;; [unrolled: 9-line block ×6, first 2 shown]
	v_lshlrev_b32_e32 v1, 24, v2
	v_mov_b32_e32 v0, v13
	v_cmp_gt_i64_e32 vcc, 0, v[0:1]
	v_not_b32_e32 v0, v1
	v_ashrrev_i32_e32 v0, 31, v0
	v_xor_b32_e32 v1, vcc_hi, v0
	v_xor_b32_e32 v0, vcc_lo, v0
	ds_read_b32 v32, v33 offset:16
	v_and_b32_e32 v0, v12, v0
	v_and_b32_e32 v1, v3, v1
	v_mbcnt_lo_u32_b32 v2, v0, 0
	v_mbcnt_hi_u32_b32 v34, v1, v2
	v_cmp_eq_u32_e32 vcc, 0, v34
	v_cmp_ne_u64_e64 s[26:27], 0, v[0:1]
	s_and_b64 s[40:41], s[26:27], vcc
	; wave barrier
	s_and_saveexec_b64 s[26:27], s[40:41]
	s_cbranch_execz .LBB0_26
; %bb.25:                               ;   in Loop: Header=BB0_20 Depth=1
	v_bcnt_u32_b32 v0, v0, 0
	v_bcnt_u32_b32 v0, v1, v0
	s_waitcnt lgkmcnt(0)
	v_add_u32_e32 v0, v32, v0
	ds_write_b32 v33, v0 offset:16
.LBB0_26:                               ;   in Loop: Header=BB0_20 Depth=1
	s_or_b64 exec, exec, s[26:27]
	v_lshrrev_b32_e32 v0, s34, v25
	v_and_b32_e32 v2, s37, v0
	v_lshlrev_b32_e32 v0, 4, v2
	v_and_b32_e32 v12, 1, v2
	v_add_u32_e32 v36, v9, v0
	v_lshl_add_u64 v[0:1], v[12:13], 0, -1
	v_cmp_ne_u32_e32 vcc, 0, v12
	; wave barrier
	s_nop 1
	v_xor_b32_e32 v1, vcc_hi, v1
	v_xor_b32_e32 v0, vcc_lo, v0
	v_and_b32_e32 v3, exec_hi, v1
	v_and_b32_e32 v12, exec_lo, v0
	v_lshlrev_b32_e32 v1, 30, v2
	v_mov_b32_e32 v0, v13
	v_cmp_gt_i64_e32 vcc, 0, v[0:1]
	v_not_b32_e32 v0, v1
	v_ashrrev_i32_e32 v0, 31, v0
	v_xor_b32_e32 v1, vcc_hi, v0
	v_xor_b32_e32 v0, vcc_lo, v0
	v_and_b32_e32 v3, v3, v1
	v_and_b32_e32 v12, v12, v0
	v_lshlrev_b32_e32 v1, 29, v2
	v_mov_b32_e32 v0, v13
	v_cmp_gt_i64_e32 vcc, 0, v[0:1]
	v_not_b32_e32 v0, v1
	v_ashrrev_i32_e32 v0, 31, v0
	v_xor_b32_e32 v1, vcc_hi, v0
	v_xor_b32_e32 v0, vcc_lo, v0
	v_and_b32_e32 v3, v3, v1
	v_and_b32_e32 v12, v12, v0
	;; [unrolled: 9-line block ×6, first 2 shown]
	v_lshlrev_b32_e32 v1, 24, v2
	v_mov_b32_e32 v0, v13
	v_cmp_gt_i64_e32 vcc, 0, v[0:1]
	v_not_b32_e32 v0, v1
	v_ashrrev_i32_e32 v0, 31, v0
	v_xor_b32_e32 v1, vcc_hi, v0
	v_xor_b32_e32 v0, vcc_lo, v0
	ds_read_b32 v35, v36 offset:16
	v_and_b32_e32 v0, v12, v0
	v_and_b32_e32 v1, v3, v1
	v_mbcnt_lo_u32_b32 v2, v0, 0
	v_mbcnt_hi_u32_b32 v12, v1, v2
	v_cmp_eq_u32_e32 vcc, 0, v12
	v_cmp_ne_u64_e64 s[26:27], 0, v[0:1]
	s_and_b64 s[40:41], s[26:27], vcc
	; wave barrier
	s_and_saveexec_b64 s[26:27], s[40:41]
	s_cbranch_execz .LBB0_28
; %bb.27:                               ;   in Loop: Header=BB0_20 Depth=1
	v_bcnt_u32_b32 v0, v0, 0
	v_bcnt_u32_b32 v0, v1, v0
	s_waitcnt lgkmcnt(0)
	v_add_u32_e32 v0, v35, v0
	ds_write_b32 v36, v0 offset:16
.LBB0_28:                               ;   in Loop: Header=BB0_20 Depth=1
	s_or_b64 exec, exec, s[26:27]
	; wave barrier
	s_waitcnt lgkmcnt(0)
	s_barrier
	ds_read2_b64 v[0:3], v7 offset0:2 offset1:3
	s_waitcnt lgkmcnt(0)
	v_add_u32_e32 v37, v1, v0
	v_add3_u32 v3, v37, v2, v3
	s_nop 1
	v_mov_b32_dpp v37, v3 row_shr:1 row_mask:0xf bank_mask:0xf
	v_cndmask_b32_e64 v37, v37, 0, s[0:1]
	v_add_u32_e32 v3, v37, v3
	s_nop 1
	v_mov_b32_dpp v37, v3 row_shr:2 row_mask:0xf bank_mask:0xf
	v_cndmask_b32_e64 v37, 0, v37, s[2:3]
	v_add_u32_e32 v3, v3, v37
	;; [unrolled: 4-line block ×4, first 2 shown]
	s_nop 1
	v_mov_b32_dpp v37, v3 row_bcast:15 row_mask:0xf bank_mask:0xf
	v_cndmask_b32_e64 v37, v37, 0, s[8:9]
	v_add_u32_e32 v3, v3, v37
	s_nop 1
	v_mov_b32_dpp v37, v3 row_bcast:31 row_mask:0xf bank_mask:0xf
	v_cndmask_b32_e64 v37, 0, v37, s[10:11]
	v_add_u32_e32 v3, v3, v37
	s_and_saveexec_b64 s[26:27], s[12:13]
; %bb.29:                               ;   in Loop: Header=BB0_20 Depth=1
	ds_write_b32 v18, v3
; %bb.30:                               ;   in Loop: Header=BB0_20 Depth=1
	s_or_b64 exec, exec, s[26:27]
	s_waitcnt lgkmcnt(0)
	s_barrier
	s_and_saveexec_b64 s[26:27], s[14:15]
	s_cbranch_execz .LBB0_32
; %bb.31:                               ;   in Loop: Header=BB0_20 Depth=1
	v_add_u32_e32 v37, v7, v16
	ds_read_b32 v38, v37
	s_waitcnt lgkmcnt(0)
	s_nop 0
	v_mov_b32_dpp v39, v38 row_shr:1 row_mask:0xf bank_mask:0xf
	v_cndmask_b32_e64 v39, v39, 0, s[22:23]
	v_add_u32_e32 v38, v39, v38
	s_nop 1
	v_mov_b32_dpp v39, v38 row_shr:2 row_mask:0xf bank_mask:0xf
	v_cndmask_b32_e64 v39, 0, v39, s[24:25]
	v_add_u32_e32 v38, v38, v39
	ds_write_b32 v37, v38
.LBB0_32:                               ;   in Loop: Header=BB0_20 Depth=1
	s_or_b64 exec, exec, s[26:27]
	v_mov_b32_e32 v37, 0
	s_waitcnt lgkmcnt(0)
	s_barrier
	s_and_saveexec_b64 s[26:27], s[16:17]
; %bb.33:                               ;   in Loop: Header=BB0_20 Depth=1
	ds_read_b32 v37, v19
; %bb.34:                               ;   in Loop: Header=BB0_20 Depth=1
	s_or_b64 exec, exec, s[26:27]
	s_waitcnt lgkmcnt(0)
	v_add_u32_e32 v3, v37, v3
	ds_bpermute_b32 v3, v17, v3
	v_lshlrev_b32_e32 v14, 2, v14
	s_add_i32 s34, s34, 8
	s_cmp_ge_u32 s34, s36
	s_mov_b64 s[26:27], -1
	s_waitcnt lgkmcnt(0)
	v_cndmask_b32_e64 v3, v3, v37, s[18:19]
	v_cndmask_b32_e64 v38, v3, 0, s[20:21]
	v_add_u32_e32 v39, v38, v0
	v_add_u32_e32 v0, v39, v1
	;; [unrolled: 1-line block ×3, first 2 shown]
	ds_write2_b64 v7, v[38:39], v[0:1] offset0:2 offset1:3
	s_waitcnt lgkmcnt(0)
	s_barrier
	ds_read_b32 v0, v15 offset:16
	ds_read_b32 v1, v30 offset:16
	;; [unrolled: 1-line block ×4, first 2 shown]
	v_lshlrev_b32_e32 v15, 2, v29
	s_waitcnt lgkmcnt(3)
	v_lshl_add_u32 v0, v0, 2, v14
	v_lshlrev_b32_e32 v14, 2, v31
	s_waitcnt lgkmcnt(2)
	v_lshlrev_b32_e32 v1, 2, v1
	v_add3_u32 v1, v14, v15, v1
	v_lshlrev_b32_e32 v14, 2, v34
	v_lshlrev_b32_e32 v15, 2, v32
	s_waitcnt lgkmcnt(1)
	v_lshlrev_b32_e32 v2, 2, v2
	v_add3_u32 v29, v14, v15, v2
	v_lshlrev_b32_e32 v2, 2, v12
	v_lshlrev_b32_e32 v12, 2, v35
	s_waitcnt lgkmcnt(0)
	v_lshlrev_b32_e32 v3, 2, v3
	v_add3_u32 v12, v2, v12, v3
	v_readfirstlane_b32 s37, v0
                                        ; implicit-def: $vgpr15
                                        ; implicit-def: $vgpr3
                                        ; implicit-def: $vgpr30
                                        ; implicit-def: $vgpr32
	s_cbranch_scc1 .LBB0_19
; %bb.35:                               ;   in Loop: Header=BB0_20 Depth=1
	s_barrier
	ds_write_b32 v0, v28
	ds_write_b32 v1, v27
	;; [unrolled: 1-line block ×4, first 2 shown]
	s_waitcnt lgkmcnt(0)
	s_barrier
	ds_read2st64_b32 v[2:3], v20 offset1:1
	ds_read2st64_b32 v[14:15], v20 offset0:2 offset1:3
	s_waitcnt lgkmcnt(0)
	s_barrier
	ds_write_b32 v0, v24
	ds_write_b32 v1, v23
	ds_write_b32 v29, v22
	ds_write_b32 v12, v21
	s_waitcnt lgkmcnt(0)
	s_barrier
	ds_read2st64_b32 v[30:31], v20 offset1:1
	ds_read2st64_b32 v[32:33], v20 offset0:2 offset1:3
	s_add_i32 s37, s35, -8
	s_mov_b64 s[26:27], 0
	s_waitcnt lgkmcnt(0)
	s_barrier
	s_branch .LBB0_19
.LBB0_36:
	v_add_u32_e32 v7, v7, v16
	s_barrier
	ds_write_b32 v0, v28
	ds_write_b32 v1, v27
	;; [unrolled: 1-line block ×4, first 2 shown]
	s_waitcnt lgkmcnt(0)
	s_barrier
	ds_read2st64_b32 v[4:5], v7 offset1:4
	ds_read2st64_b32 v[14:15], v7 offset0:8 offset1:12
	s_waitcnt lgkmcnt(0)
	s_barrier
	ds_write_b32 v0, v24
	ds_write_b32 v1, v23
	;; [unrolled: 1-line block ×4, first 2 shown]
	s_waitcnt lgkmcnt(0)
	s_barrier
	ds_read2st64_b32 v[2:3], v7 offset1:4
	ds_read2st64_b32 v[0:1], v7 offset0:8 offset1:12
	s_add_u32 s0, s38, s28
	s_addc_u32 s1, s39, s29
	v_mov_b32_e32 v7, 0
	v_xor_b32_e32 v12, 0x7fffffff, v4
	v_xor_b32_e32 v11, 0x7fffffff, v5
	;; [unrolled: 1-line block ×4, first 2 shown]
	s_andn2_b64 vcc, exec, s[30:31]
	v_lshl_add_u64 v[4:5], s[0:1], 0, v[6:7]
	s_cbranch_vccnz .LBB0_38
; %bb.37:
	s_add_u32 s0, s42, s28
	s_addc_u32 s1, s43, s29
	global_store_dword v[4:5], v12, off
	global_store_dword v[4:5], v11, off offset:1024
	global_store_dword v[4:5], v10, off offset:2048
	;; [unrolled: 1-line block ×3, first 2 shown]
	s_waitcnt lgkmcnt(1)
	global_store_dword v6, v2, s[0:1]
	global_store_dword v6, v3, s[0:1] offset:1024
	s_waitcnt lgkmcnt(0)
	global_store_dword v6, v0, s[0:1] offset:2048
	s_mov_b64 s[4:5], -1
	s_cbranch_execz .LBB0_39
	s_branch .LBB0_52
.LBB0_38:
	s_mov_b64 s[4:5], 0
.LBB0_39:
	v_cmp_gt_u32_e32 vcc, s33, v8
	s_and_saveexec_b64 s[0:1], vcc
	s_cbranch_execz .LBB0_41
; %bb.40:
	global_store_dword v[4:5], v12, off
.LBB0_41:
	s_or_b64 exec, exec, s[0:1]
	v_add_u32_e32 v7, 0x100, v8
	v_cmp_gt_u32_e64 s[0:1], s33, v7
	s_and_saveexec_b64 s[2:3], s[0:1]
	s_cbranch_execz .LBB0_43
; %bb.42:
	global_store_dword v[4:5], v11, off offset:1024
.LBB0_43:
	s_or_b64 exec, exec, s[2:3]
	v_add_u32_e32 v7, 0x200, v8
	v_cmp_gt_u32_e64 s[2:3], s33, v7
	s_and_saveexec_b64 s[4:5], s[2:3]
	s_cbranch_execz .LBB0_45
; %bb.44:
	global_store_dword v[4:5], v10, off offset:2048
.LBB0_45:
	;; [unrolled: 8-line block ×3, first 2 shown]
	s_or_b64 exec, exec, s[6:7]
	s_add_u32 s6, s42, s28
	s_addc_u32 s7, s43, s29
	v_mov_b32_e32 v7, 0
	v_lshl_add_u64 v[4:5], s[6:7], 0, v[6:7]
	s_and_saveexec_b64 s[6:7], vcc
	s_cbranch_execnz .LBB0_57
; %bb.48:
	s_or_b64 exec, exec, s[6:7]
	s_and_saveexec_b64 s[6:7], s[0:1]
	s_cbranch_execnz .LBB0_58
.LBB0_49:
	s_or_b64 exec, exec, s[6:7]
	s_and_saveexec_b64 s[0:1], s[2:3]
	s_cbranch_execz .LBB0_51
.LBB0_50:
	s_waitcnt lgkmcnt(0)
	global_store_dword v[4:5], v0, off offset:2048
.LBB0_51:
	s_or_b64 exec, exec, s[0:1]
.LBB0_52:
	s_and_saveexec_b64 s[0:1], s[4:5]
	s_cbranch_execnz .LBB0_54
; %bb.53:
	s_endpgm
.LBB0_54:
	s_add_u32 s0, s42, s28
	s_addc_u32 s1, s43, s29
	s_waitcnt lgkmcnt(0)
	global_store_dword v6, v1, s[0:1] offset:3072
	s_endpgm
.LBB0_55:
	global_load_dword v30, v[14:15], off
	s_or_b64 exec, exec, s[8:9]
	s_and_saveexec_b64 s[8:9], s[2:3]
	s_cbranch_execz .LBB0_13
.LBB0_56:
	global_load_dword v31, v[14:15], off offset:256
	s_or_b64 exec, exec, s[8:9]
                                        ; implicit-def: $vgpr32
	s_and_saveexec_b64 s[2:3], s[4:5]
	s_cbranch_execnz .LBB0_14
	s_branch .LBB0_15
.LBB0_57:
	s_waitcnt lgkmcnt(1)
	global_store_dword v[4:5], v2, off
	s_or_b64 exec, exec, s[6:7]
	s_and_saveexec_b64 s[6:7], s[0:1]
	s_cbranch_execz .LBB0_49
.LBB0_58:
	s_waitcnt lgkmcnt(1)
	global_store_dword v[4:5], v3, off offset:1024
	s_or_b64 exec, exec, s[6:7]
	s_and_saveexec_b64 s[0:1], s[2:3]
	s_cbranch_execnz .LBB0_50
	s_branch .LBB0_51
	.section	.rodata,"a",@progbits
	.p2align	6, 0x0
	.amdhsa_kernel _ZN7rocprim17ROCPRIM_304000_NS6detail28radix_sort_block_sort_kernelINS1_36wrapped_radix_sort_block_sort_configINS0_13kernel_configILj256ELj4ELj4294967295EEEiN2at4cuda3cub6detail10OpaqueTypeILi4EEEEELb1EPKiPiPKSB_PSB_NS0_19identity_decomposerEEEvT1_T2_T3_T4_jT5_jj
		.amdhsa_group_segment_fixed_size 4112
		.amdhsa_private_segment_fixed_size 0
		.amdhsa_kernarg_size 304
		.amdhsa_user_sgpr_count 2
		.amdhsa_user_sgpr_dispatch_ptr 0
		.amdhsa_user_sgpr_queue_ptr 0
		.amdhsa_user_sgpr_kernarg_segment_ptr 1
		.amdhsa_user_sgpr_dispatch_id 0
		.amdhsa_user_sgpr_kernarg_preload_length 0
		.amdhsa_user_sgpr_kernarg_preload_offset 0
		.amdhsa_user_sgpr_private_segment_size 0
		.amdhsa_uses_dynamic_stack 0
		.amdhsa_enable_private_segment 0
		.amdhsa_system_sgpr_workgroup_id_x 1
		.amdhsa_system_sgpr_workgroup_id_y 0
		.amdhsa_system_sgpr_workgroup_id_z 0
		.amdhsa_system_sgpr_workgroup_info 0
		.amdhsa_system_vgpr_workitem_id 2
		.amdhsa_next_free_vgpr 40
		.amdhsa_next_free_sgpr 44
		.amdhsa_accum_offset 40
		.amdhsa_reserve_vcc 1
		.amdhsa_float_round_mode_32 0
		.amdhsa_float_round_mode_16_64 0
		.amdhsa_float_denorm_mode_32 3
		.amdhsa_float_denorm_mode_16_64 3
		.amdhsa_dx10_clamp 1
		.amdhsa_ieee_mode 1
		.amdhsa_fp16_overflow 0
		.amdhsa_tg_split 0
		.amdhsa_exception_fp_ieee_invalid_op 0
		.amdhsa_exception_fp_denorm_src 0
		.amdhsa_exception_fp_ieee_div_zero 0
		.amdhsa_exception_fp_ieee_overflow 0
		.amdhsa_exception_fp_ieee_underflow 0
		.amdhsa_exception_fp_ieee_inexact 0
		.amdhsa_exception_int_div_zero 0
	.end_amdhsa_kernel
	.section	.text._ZN7rocprim17ROCPRIM_304000_NS6detail28radix_sort_block_sort_kernelINS1_36wrapped_radix_sort_block_sort_configINS0_13kernel_configILj256ELj4ELj4294967295EEEiN2at4cuda3cub6detail10OpaqueTypeILi4EEEEELb1EPKiPiPKSB_PSB_NS0_19identity_decomposerEEEvT1_T2_T3_T4_jT5_jj,"axG",@progbits,_ZN7rocprim17ROCPRIM_304000_NS6detail28radix_sort_block_sort_kernelINS1_36wrapped_radix_sort_block_sort_configINS0_13kernel_configILj256ELj4ELj4294967295EEEiN2at4cuda3cub6detail10OpaqueTypeILi4EEEEELb1EPKiPiPKSB_PSB_NS0_19identity_decomposerEEEvT1_T2_T3_T4_jT5_jj,comdat
.Lfunc_end0:
	.size	_ZN7rocprim17ROCPRIM_304000_NS6detail28radix_sort_block_sort_kernelINS1_36wrapped_radix_sort_block_sort_configINS0_13kernel_configILj256ELj4ELj4294967295EEEiN2at4cuda3cub6detail10OpaqueTypeILi4EEEEELb1EPKiPiPKSB_PSB_NS0_19identity_decomposerEEEvT1_T2_T3_T4_jT5_jj, .Lfunc_end0-_ZN7rocprim17ROCPRIM_304000_NS6detail28radix_sort_block_sort_kernelINS1_36wrapped_radix_sort_block_sort_configINS0_13kernel_configILj256ELj4ELj4294967295EEEiN2at4cuda3cub6detail10OpaqueTypeILi4EEEEELb1EPKiPiPKSB_PSB_NS0_19identity_decomposerEEEvT1_T2_T3_T4_jT5_jj
                                        ; -- End function
	.set _ZN7rocprim17ROCPRIM_304000_NS6detail28radix_sort_block_sort_kernelINS1_36wrapped_radix_sort_block_sort_configINS0_13kernel_configILj256ELj4ELj4294967295EEEiN2at4cuda3cub6detail10OpaqueTypeILi4EEEEELb1EPKiPiPKSB_PSB_NS0_19identity_decomposerEEEvT1_T2_T3_T4_jT5_jj.num_vgpr, 40
	.set _ZN7rocprim17ROCPRIM_304000_NS6detail28radix_sort_block_sort_kernelINS1_36wrapped_radix_sort_block_sort_configINS0_13kernel_configILj256ELj4ELj4294967295EEEiN2at4cuda3cub6detail10OpaqueTypeILi4EEEEELb1EPKiPiPKSB_PSB_NS0_19identity_decomposerEEEvT1_T2_T3_T4_jT5_jj.num_agpr, 0
	.set _ZN7rocprim17ROCPRIM_304000_NS6detail28radix_sort_block_sort_kernelINS1_36wrapped_radix_sort_block_sort_configINS0_13kernel_configILj256ELj4ELj4294967295EEEiN2at4cuda3cub6detail10OpaqueTypeILi4EEEEELb1EPKiPiPKSB_PSB_NS0_19identity_decomposerEEEvT1_T2_T3_T4_jT5_jj.numbered_sgpr, 44
	.set _ZN7rocprim17ROCPRIM_304000_NS6detail28radix_sort_block_sort_kernelINS1_36wrapped_radix_sort_block_sort_configINS0_13kernel_configILj256ELj4ELj4294967295EEEiN2at4cuda3cub6detail10OpaqueTypeILi4EEEEELb1EPKiPiPKSB_PSB_NS0_19identity_decomposerEEEvT1_T2_T3_T4_jT5_jj.num_named_barrier, 0
	.set _ZN7rocprim17ROCPRIM_304000_NS6detail28radix_sort_block_sort_kernelINS1_36wrapped_radix_sort_block_sort_configINS0_13kernel_configILj256ELj4ELj4294967295EEEiN2at4cuda3cub6detail10OpaqueTypeILi4EEEEELb1EPKiPiPKSB_PSB_NS0_19identity_decomposerEEEvT1_T2_T3_T4_jT5_jj.private_seg_size, 0
	.set _ZN7rocprim17ROCPRIM_304000_NS6detail28radix_sort_block_sort_kernelINS1_36wrapped_radix_sort_block_sort_configINS0_13kernel_configILj256ELj4ELj4294967295EEEiN2at4cuda3cub6detail10OpaqueTypeILi4EEEEELb1EPKiPiPKSB_PSB_NS0_19identity_decomposerEEEvT1_T2_T3_T4_jT5_jj.uses_vcc, 1
	.set _ZN7rocprim17ROCPRIM_304000_NS6detail28radix_sort_block_sort_kernelINS1_36wrapped_radix_sort_block_sort_configINS0_13kernel_configILj256ELj4ELj4294967295EEEiN2at4cuda3cub6detail10OpaqueTypeILi4EEEEELb1EPKiPiPKSB_PSB_NS0_19identity_decomposerEEEvT1_T2_T3_T4_jT5_jj.uses_flat_scratch, 0
	.set _ZN7rocprim17ROCPRIM_304000_NS6detail28radix_sort_block_sort_kernelINS1_36wrapped_radix_sort_block_sort_configINS0_13kernel_configILj256ELj4ELj4294967295EEEiN2at4cuda3cub6detail10OpaqueTypeILi4EEEEELb1EPKiPiPKSB_PSB_NS0_19identity_decomposerEEEvT1_T2_T3_T4_jT5_jj.has_dyn_sized_stack, 0
	.set _ZN7rocprim17ROCPRIM_304000_NS6detail28radix_sort_block_sort_kernelINS1_36wrapped_radix_sort_block_sort_configINS0_13kernel_configILj256ELj4ELj4294967295EEEiN2at4cuda3cub6detail10OpaqueTypeILi4EEEEELb1EPKiPiPKSB_PSB_NS0_19identity_decomposerEEEvT1_T2_T3_T4_jT5_jj.has_recursion, 0
	.set _ZN7rocprim17ROCPRIM_304000_NS6detail28radix_sort_block_sort_kernelINS1_36wrapped_radix_sort_block_sort_configINS0_13kernel_configILj256ELj4ELj4294967295EEEiN2at4cuda3cub6detail10OpaqueTypeILi4EEEEELb1EPKiPiPKSB_PSB_NS0_19identity_decomposerEEEvT1_T2_T3_T4_jT5_jj.has_indirect_call, 0
	.section	.AMDGPU.csdata,"",@progbits
; Kernel info:
; codeLenInByte = 3748
; TotalNumSgprs: 50
; NumVgprs: 40
; NumAgprs: 0
; TotalNumVgprs: 40
; ScratchSize: 0
; MemoryBound: 0
; FloatMode: 240
; IeeeMode: 1
; LDSByteSize: 4112 bytes/workgroup (compile time only)
; SGPRBlocks: 6
; VGPRBlocks: 4
; NumSGPRsForWavesPerEU: 50
; NumVGPRsForWavesPerEU: 40
; AccumOffset: 40
; Occupancy: 8
; WaveLimiterHint : 1
; COMPUTE_PGM_RSRC2:SCRATCH_EN: 0
; COMPUTE_PGM_RSRC2:USER_SGPR: 2
; COMPUTE_PGM_RSRC2:TRAP_HANDLER: 0
; COMPUTE_PGM_RSRC2:TGID_X_EN: 1
; COMPUTE_PGM_RSRC2:TGID_Y_EN: 0
; COMPUTE_PGM_RSRC2:TGID_Z_EN: 0
; COMPUTE_PGM_RSRC2:TIDIG_COMP_CNT: 2
; COMPUTE_PGM_RSRC3_GFX90A:ACCUM_OFFSET: 9
; COMPUTE_PGM_RSRC3_GFX90A:TG_SPLIT: 0
	.section	.text._ZN7rocprim17ROCPRIM_304000_NS6detail39device_merge_sort_compile_time_verifierINS1_36wrapped_merge_sort_block_sort_configINS1_28merge_sort_block_sort_configILj256ELj4ELNS0_20block_sort_algorithmE0EEEiN2at4cuda3cub6detail10OpaqueTypeILi4EEEEENS1_37wrapped_merge_sort_block_merge_configINS0_14default_configEiSC_EEEEvv,"axG",@progbits,_ZN7rocprim17ROCPRIM_304000_NS6detail39device_merge_sort_compile_time_verifierINS1_36wrapped_merge_sort_block_sort_configINS1_28merge_sort_block_sort_configILj256ELj4ELNS0_20block_sort_algorithmE0EEEiN2at4cuda3cub6detail10OpaqueTypeILi4EEEEENS1_37wrapped_merge_sort_block_merge_configINS0_14default_configEiSC_EEEEvv,comdat
	.protected	_ZN7rocprim17ROCPRIM_304000_NS6detail39device_merge_sort_compile_time_verifierINS1_36wrapped_merge_sort_block_sort_configINS1_28merge_sort_block_sort_configILj256ELj4ELNS0_20block_sort_algorithmE0EEEiN2at4cuda3cub6detail10OpaqueTypeILi4EEEEENS1_37wrapped_merge_sort_block_merge_configINS0_14default_configEiSC_EEEEvv ; -- Begin function _ZN7rocprim17ROCPRIM_304000_NS6detail39device_merge_sort_compile_time_verifierINS1_36wrapped_merge_sort_block_sort_configINS1_28merge_sort_block_sort_configILj256ELj4ELNS0_20block_sort_algorithmE0EEEiN2at4cuda3cub6detail10OpaqueTypeILi4EEEEENS1_37wrapped_merge_sort_block_merge_configINS0_14default_configEiSC_EEEEvv
	.globl	_ZN7rocprim17ROCPRIM_304000_NS6detail39device_merge_sort_compile_time_verifierINS1_36wrapped_merge_sort_block_sort_configINS1_28merge_sort_block_sort_configILj256ELj4ELNS0_20block_sort_algorithmE0EEEiN2at4cuda3cub6detail10OpaqueTypeILi4EEEEENS1_37wrapped_merge_sort_block_merge_configINS0_14default_configEiSC_EEEEvv
	.p2align	8
	.type	_ZN7rocprim17ROCPRIM_304000_NS6detail39device_merge_sort_compile_time_verifierINS1_36wrapped_merge_sort_block_sort_configINS1_28merge_sort_block_sort_configILj256ELj4ELNS0_20block_sort_algorithmE0EEEiN2at4cuda3cub6detail10OpaqueTypeILi4EEEEENS1_37wrapped_merge_sort_block_merge_configINS0_14default_configEiSC_EEEEvv,@function
_ZN7rocprim17ROCPRIM_304000_NS6detail39device_merge_sort_compile_time_verifierINS1_36wrapped_merge_sort_block_sort_configINS1_28merge_sort_block_sort_configILj256ELj4ELNS0_20block_sort_algorithmE0EEEiN2at4cuda3cub6detail10OpaqueTypeILi4EEEEENS1_37wrapped_merge_sort_block_merge_configINS0_14default_configEiSC_EEEEvv: ; @_ZN7rocprim17ROCPRIM_304000_NS6detail39device_merge_sort_compile_time_verifierINS1_36wrapped_merge_sort_block_sort_configINS1_28merge_sort_block_sort_configILj256ELj4ELNS0_20block_sort_algorithmE0EEEiN2at4cuda3cub6detail10OpaqueTypeILi4EEEEENS1_37wrapped_merge_sort_block_merge_configINS0_14default_configEiSC_EEEEvv
; %bb.0:
	s_endpgm
	.section	.rodata,"a",@progbits
	.p2align	6, 0x0
	.amdhsa_kernel _ZN7rocprim17ROCPRIM_304000_NS6detail39device_merge_sort_compile_time_verifierINS1_36wrapped_merge_sort_block_sort_configINS1_28merge_sort_block_sort_configILj256ELj4ELNS0_20block_sort_algorithmE0EEEiN2at4cuda3cub6detail10OpaqueTypeILi4EEEEENS1_37wrapped_merge_sort_block_merge_configINS0_14default_configEiSC_EEEEvv
		.amdhsa_group_segment_fixed_size 0
		.amdhsa_private_segment_fixed_size 0
		.amdhsa_kernarg_size 0
		.amdhsa_user_sgpr_count 0
		.amdhsa_user_sgpr_dispatch_ptr 0
		.amdhsa_user_sgpr_queue_ptr 0
		.amdhsa_user_sgpr_kernarg_segment_ptr 0
		.amdhsa_user_sgpr_dispatch_id 0
		.amdhsa_user_sgpr_kernarg_preload_length 0
		.amdhsa_user_sgpr_kernarg_preload_offset 0
		.amdhsa_user_sgpr_private_segment_size 0
		.amdhsa_uses_dynamic_stack 0
		.amdhsa_enable_private_segment 0
		.amdhsa_system_sgpr_workgroup_id_x 1
		.amdhsa_system_sgpr_workgroup_id_y 0
		.amdhsa_system_sgpr_workgroup_id_z 0
		.amdhsa_system_sgpr_workgroup_info 0
		.amdhsa_system_vgpr_workitem_id 0
		.amdhsa_next_free_vgpr 1
		.amdhsa_next_free_sgpr 0
		.amdhsa_accum_offset 4
		.amdhsa_reserve_vcc 0
		.amdhsa_float_round_mode_32 0
		.amdhsa_float_round_mode_16_64 0
		.amdhsa_float_denorm_mode_32 3
		.amdhsa_float_denorm_mode_16_64 3
		.amdhsa_dx10_clamp 1
		.amdhsa_ieee_mode 1
		.amdhsa_fp16_overflow 0
		.amdhsa_tg_split 0
		.amdhsa_exception_fp_ieee_invalid_op 0
		.amdhsa_exception_fp_denorm_src 0
		.amdhsa_exception_fp_ieee_div_zero 0
		.amdhsa_exception_fp_ieee_overflow 0
		.amdhsa_exception_fp_ieee_underflow 0
		.amdhsa_exception_fp_ieee_inexact 0
		.amdhsa_exception_int_div_zero 0
	.end_amdhsa_kernel
	.section	.text._ZN7rocprim17ROCPRIM_304000_NS6detail39device_merge_sort_compile_time_verifierINS1_36wrapped_merge_sort_block_sort_configINS1_28merge_sort_block_sort_configILj256ELj4ELNS0_20block_sort_algorithmE0EEEiN2at4cuda3cub6detail10OpaqueTypeILi4EEEEENS1_37wrapped_merge_sort_block_merge_configINS0_14default_configEiSC_EEEEvv,"axG",@progbits,_ZN7rocprim17ROCPRIM_304000_NS6detail39device_merge_sort_compile_time_verifierINS1_36wrapped_merge_sort_block_sort_configINS1_28merge_sort_block_sort_configILj256ELj4ELNS0_20block_sort_algorithmE0EEEiN2at4cuda3cub6detail10OpaqueTypeILi4EEEEENS1_37wrapped_merge_sort_block_merge_configINS0_14default_configEiSC_EEEEvv,comdat
.Lfunc_end1:
	.size	_ZN7rocprim17ROCPRIM_304000_NS6detail39device_merge_sort_compile_time_verifierINS1_36wrapped_merge_sort_block_sort_configINS1_28merge_sort_block_sort_configILj256ELj4ELNS0_20block_sort_algorithmE0EEEiN2at4cuda3cub6detail10OpaqueTypeILi4EEEEENS1_37wrapped_merge_sort_block_merge_configINS0_14default_configEiSC_EEEEvv, .Lfunc_end1-_ZN7rocprim17ROCPRIM_304000_NS6detail39device_merge_sort_compile_time_verifierINS1_36wrapped_merge_sort_block_sort_configINS1_28merge_sort_block_sort_configILj256ELj4ELNS0_20block_sort_algorithmE0EEEiN2at4cuda3cub6detail10OpaqueTypeILi4EEEEENS1_37wrapped_merge_sort_block_merge_configINS0_14default_configEiSC_EEEEvv
                                        ; -- End function
	.set _ZN7rocprim17ROCPRIM_304000_NS6detail39device_merge_sort_compile_time_verifierINS1_36wrapped_merge_sort_block_sort_configINS1_28merge_sort_block_sort_configILj256ELj4ELNS0_20block_sort_algorithmE0EEEiN2at4cuda3cub6detail10OpaqueTypeILi4EEEEENS1_37wrapped_merge_sort_block_merge_configINS0_14default_configEiSC_EEEEvv.num_vgpr, 0
	.set _ZN7rocprim17ROCPRIM_304000_NS6detail39device_merge_sort_compile_time_verifierINS1_36wrapped_merge_sort_block_sort_configINS1_28merge_sort_block_sort_configILj256ELj4ELNS0_20block_sort_algorithmE0EEEiN2at4cuda3cub6detail10OpaqueTypeILi4EEEEENS1_37wrapped_merge_sort_block_merge_configINS0_14default_configEiSC_EEEEvv.num_agpr, 0
	.set _ZN7rocprim17ROCPRIM_304000_NS6detail39device_merge_sort_compile_time_verifierINS1_36wrapped_merge_sort_block_sort_configINS1_28merge_sort_block_sort_configILj256ELj4ELNS0_20block_sort_algorithmE0EEEiN2at4cuda3cub6detail10OpaqueTypeILi4EEEEENS1_37wrapped_merge_sort_block_merge_configINS0_14default_configEiSC_EEEEvv.numbered_sgpr, 0
	.set _ZN7rocprim17ROCPRIM_304000_NS6detail39device_merge_sort_compile_time_verifierINS1_36wrapped_merge_sort_block_sort_configINS1_28merge_sort_block_sort_configILj256ELj4ELNS0_20block_sort_algorithmE0EEEiN2at4cuda3cub6detail10OpaqueTypeILi4EEEEENS1_37wrapped_merge_sort_block_merge_configINS0_14default_configEiSC_EEEEvv.num_named_barrier, 0
	.set _ZN7rocprim17ROCPRIM_304000_NS6detail39device_merge_sort_compile_time_verifierINS1_36wrapped_merge_sort_block_sort_configINS1_28merge_sort_block_sort_configILj256ELj4ELNS0_20block_sort_algorithmE0EEEiN2at4cuda3cub6detail10OpaqueTypeILi4EEEEENS1_37wrapped_merge_sort_block_merge_configINS0_14default_configEiSC_EEEEvv.private_seg_size, 0
	.set _ZN7rocprim17ROCPRIM_304000_NS6detail39device_merge_sort_compile_time_verifierINS1_36wrapped_merge_sort_block_sort_configINS1_28merge_sort_block_sort_configILj256ELj4ELNS0_20block_sort_algorithmE0EEEiN2at4cuda3cub6detail10OpaqueTypeILi4EEEEENS1_37wrapped_merge_sort_block_merge_configINS0_14default_configEiSC_EEEEvv.uses_vcc, 0
	.set _ZN7rocprim17ROCPRIM_304000_NS6detail39device_merge_sort_compile_time_verifierINS1_36wrapped_merge_sort_block_sort_configINS1_28merge_sort_block_sort_configILj256ELj4ELNS0_20block_sort_algorithmE0EEEiN2at4cuda3cub6detail10OpaqueTypeILi4EEEEENS1_37wrapped_merge_sort_block_merge_configINS0_14default_configEiSC_EEEEvv.uses_flat_scratch, 0
	.set _ZN7rocprim17ROCPRIM_304000_NS6detail39device_merge_sort_compile_time_verifierINS1_36wrapped_merge_sort_block_sort_configINS1_28merge_sort_block_sort_configILj256ELj4ELNS0_20block_sort_algorithmE0EEEiN2at4cuda3cub6detail10OpaqueTypeILi4EEEEENS1_37wrapped_merge_sort_block_merge_configINS0_14default_configEiSC_EEEEvv.has_dyn_sized_stack, 0
	.set _ZN7rocprim17ROCPRIM_304000_NS6detail39device_merge_sort_compile_time_verifierINS1_36wrapped_merge_sort_block_sort_configINS1_28merge_sort_block_sort_configILj256ELj4ELNS0_20block_sort_algorithmE0EEEiN2at4cuda3cub6detail10OpaqueTypeILi4EEEEENS1_37wrapped_merge_sort_block_merge_configINS0_14default_configEiSC_EEEEvv.has_recursion, 0
	.set _ZN7rocprim17ROCPRIM_304000_NS6detail39device_merge_sort_compile_time_verifierINS1_36wrapped_merge_sort_block_sort_configINS1_28merge_sort_block_sort_configILj256ELj4ELNS0_20block_sort_algorithmE0EEEiN2at4cuda3cub6detail10OpaqueTypeILi4EEEEENS1_37wrapped_merge_sort_block_merge_configINS0_14default_configEiSC_EEEEvv.has_indirect_call, 0
	.section	.AMDGPU.csdata,"",@progbits
; Kernel info:
; codeLenInByte = 4
; TotalNumSgprs: 6
; NumVgprs: 0
; NumAgprs: 0
; TotalNumVgprs: 0
; ScratchSize: 0
; MemoryBound: 0
; FloatMode: 240
; IeeeMode: 1
; LDSByteSize: 0 bytes/workgroup (compile time only)
; SGPRBlocks: 0
; VGPRBlocks: 0
; NumSGPRsForWavesPerEU: 6
; NumVGPRsForWavesPerEU: 1
; AccumOffset: 4
; Occupancy: 8
; WaveLimiterHint : 0
; COMPUTE_PGM_RSRC2:SCRATCH_EN: 0
; COMPUTE_PGM_RSRC2:USER_SGPR: 0
; COMPUTE_PGM_RSRC2:TRAP_HANDLER: 0
; COMPUTE_PGM_RSRC2:TGID_X_EN: 1
; COMPUTE_PGM_RSRC2:TGID_Y_EN: 0
; COMPUTE_PGM_RSRC2:TGID_Z_EN: 0
; COMPUTE_PGM_RSRC2:TIDIG_COMP_CNT: 0
; COMPUTE_PGM_RSRC3_GFX90A:ACCUM_OFFSET: 0
; COMPUTE_PGM_RSRC3_GFX90A:TG_SPLIT: 0
	.section	.text._ZN7rocprim17ROCPRIM_304000_NS6detail45device_block_merge_mergepath_partition_kernelINS1_37wrapped_merge_sort_block_merge_configINS0_14default_configEiN2at4cuda3cub6detail10OpaqueTypeILi4EEEEEPijNS1_19radix_merge_compareILb1ELb0EiNS0_19identity_decomposerEEEEEvT0_T1_jPSH_T2_SH_,"axG",@progbits,_ZN7rocprim17ROCPRIM_304000_NS6detail45device_block_merge_mergepath_partition_kernelINS1_37wrapped_merge_sort_block_merge_configINS0_14default_configEiN2at4cuda3cub6detail10OpaqueTypeILi4EEEEEPijNS1_19radix_merge_compareILb1ELb0EiNS0_19identity_decomposerEEEEEvT0_T1_jPSH_T2_SH_,comdat
	.protected	_ZN7rocprim17ROCPRIM_304000_NS6detail45device_block_merge_mergepath_partition_kernelINS1_37wrapped_merge_sort_block_merge_configINS0_14default_configEiN2at4cuda3cub6detail10OpaqueTypeILi4EEEEEPijNS1_19radix_merge_compareILb1ELb0EiNS0_19identity_decomposerEEEEEvT0_T1_jPSH_T2_SH_ ; -- Begin function _ZN7rocprim17ROCPRIM_304000_NS6detail45device_block_merge_mergepath_partition_kernelINS1_37wrapped_merge_sort_block_merge_configINS0_14default_configEiN2at4cuda3cub6detail10OpaqueTypeILi4EEEEEPijNS1_19radix_merge_compareILb1ELb0EiNS0_19identity_decomposerEEEEEvT0_T1_jPSH_T2_SH_
	.globl	_ZN7rocprim17ROCPRIM_304000_NS6detail45device_block_merge_mergepath_partition_kernelINS1_37wrapped_merge_sort_block_merge_configINS0_14default_configEiN2at4cuda3cub6detail10OpaqueTypeILi4EEEEEPijNS1_19radix_merge_compareILb1ELb0EiNS0_19identity_decomposerEEEEEvT0_T1_jPSH_T2_SH_
	.p2align	8
	.type	_ZN7rocprim17ROCPRIM_304000_NS6detail45device_block_merge_mergepath_partition_kernelINS1_37wrapped_merge_sort_block_merge_configINS0_14default_configEiN2at4cuda3cub6detail10OpaqueTypeILi4EEEEEPijNS1_19radix_merge_compareILb1ELb0EiNS0_19identity_decomposerEEEEEvT0_T1_jPSH_T2_SH_,@function
_ZN7rocprim17ROCPRIM_304000_NS6detail45device_block_merge_mergepath_partition_kernelINS1_37wrapped_merge_sort_block_merge_configINS0_14default_configEiN2at4cuda3cub6detail10OpaqueTypeILi4EEEEEPijNS1_19radix_merge_compareILb1ELb0EiNS0_19identity_decomposerEEEEEvT0_T1_jPSH_T2_SH_: ; @_ZN7rocprim17ROCPRIM_304000_NS6detail45device_block_merge_mergepath_partition_kernelINS1_37wrapped_merge_sort_block_merge_configINS0_14default_configEiN2at4cuda3cub6detail10OpaqueTypeILi4EEEEEPijNS1_19radix_merge_compareILb1ELb0EiNS0_19identity_decomposerEEEEEvT0_T1_jPSH_T2_SH_
; %bb.0:
	s_load_dwordx2 s[4:5], s[0:1], 0x8
	v_lshl_or_b32 v0, s2, 7, v0
	s_waitcnt lgkmcnt(0)
	v_cmp_gt_u32_e32 vcc, s5, v0
	s_and_saveexec_b64 s[2:3], vcc
	s_cbranch_execz .LBB2_6
; %bb.1:
	s_load_dword s2, s[0:1], 0x1c
	s_waitcnt lgkmcnt(0)
	s_lshr_b32 s3, s2, 9
	s_and_b32 s3, s3, 0x7ffffe
	s_add_i32 s5, s3, -1
	s_sub_i32 s3, 0, s3
	v_and_b32_e32 v1, s3, v0
	v_and_b32_e32 v2, s5, v0
	v_lshlrev_b32_e32 v1, 10, v1
	v_lshlrev_b32_e32 v3, 10, v2
	v_min_u32_e32 v2, s4, v1
	v_add_u32_e32 v1, s2, v1
	v_min_u32_e32 v4, s4, v1
	v_add_u32_e32 v1, s2, v4
	v_min_u32_e32 v1, s4, v1
	v_sub_u32_e32 v5, v1, v2
	v_min_u32_e32 v10, v5, v3
	v_sub_u32_e32 v3, v4, v2
	v_sub_u32_e32 v1, v1, v4
	v_sub_u32_e64 v1, v10, v1 clamp
	v_min_u32_e32 v11, v10, v3
	v_cmp_lt_u32_e32 vcc, v1, v11
	s_and_saveexec_b64 s[2:3], vcc
	s_cbranch_execz .LBB2_5
; %bb.2:
	s_load_dwordx2 s[4:5], s[0:1], 0x0
	v_mov_b32_e32 v5, 0
	v_mov_b32_e32 v3, v5
	s_waitcnt lgkmcnt(0)
	v_lshl_add_u64 v[6:7], v[2:3], 2, s[4:5]
	v_lshl_add_u64 v[8:9], v[4:5], 2, s[4:5]
	s_mov_b64 s[4:5], 0
.LBB2_3:                                ; =>This Inner Loop Header: Depth=1
	v_add_u32_e32 v3, v11, v1
	v_lshrrev_b32_e32 v4, 1, v3
	v_mov_b32_e32 v13, v5
	v_xad_u32 v12, v4, -1, v10
	v_lshl_add_u64 v[14:15], v[4:5], 2, v[6:7]
	v_lshl_add_u64 v[12:13], v[12:13], 2, v[8:9]
	global_load_dword v3, v[14:15], off
	global_load_dword v16, v[12:13], off
	v_add_u32_e32 v12, 1, v4
	s_waitcnt vmcnt(0)
	v_cmp_gt_i32_e32 vcc, v16, v3
	s_nop 1
	v_cndmask_b32_e32 v11, v11, v4, vcc
	v_cndmask_b32_e32 v1, v12, v1, vcc
	v_cmp_ge_u32_e32 vcc, v1, v11
	s_or_b64 s[4:5], vcc, s[4:5]
	s_andn2_b64 exec, exec, s[4:5]
	s_cbranch_execnz .LBB2_3
; %bb.4:
	s_or_b64 exec, exec, s[4:5]
.LBB2_5:
	s_or_b64 exec, exec, s[2:3]
	s_load_dwordx2 s[0:1], s[0:1], 0x10
	v_add_u32_e32 v2, v1, v2
	v_mov_b32_e32 v1, 0
	s_waitcnt lgkmcnt(0)
	v_lshl_add_u64 v[0:1], v[0:1], 2, s[0:1]
	global_store_dword v[0:1], v2, off
.LBB2_6:
	s_endpgm
	.section	.rodata,"a",@progbits
	.p2align	6, 0x0
	.amdhsa_kernel _ZN7rocprim17ROCPRIM_304000_NS6detail45device_block_merge_mergepath_partition_kernelINS1_37wrapped_merge_sort_block_merge_configINS0_14default_configEiN2at4cuda3cub6detail10OpaqueTypeILi4EEEEEPijNS1_19radix_merge_compareILb1ELb0EiNS0_19identity_decomposerEEEEEvT0_T1_jPSH_T2_SH_
		.amdhsa_group_segment_fixed_size 0
		.amdhsa_private_segment_fixed_size 0
		.amdhsa_kernarg_size 32
		.amdhsa_user_sgpr_count 2
		.amdhsa_user_sgpr_dispatch_ptr 0
		.amdhsa_user_sgpr_queue_ptr 0
		.amdhsa_user_sgpr_kernarg_segment_ptr 1
		.amdhsa_user_sgpr_dispatch_id 0
		.amdhsa_user_sgpr_kernarg_preload_length 0
		.amdhsa_user_sgpr_kernarg_preload_offset 0
		.amdhsa_user_sgpr_private_segment_size 0
		.amdhsa_uses_dynamic_stack 0
		.amdhsa_enable_private_segment 0
		.amdhsa_system_sgpr_workgroup_id_x 1
		.amdhsa_system_sgpr_workgroup_id_y 0
		.amdhsa_system_sgpr_workgroup_id_z 0
		.amdhsa_system_sgpr_workgroup_info 0
		.amdhsa_system_vgpr_workitem_id 0
		.amdhsa_next_free_vgpr 17
		.amdhsa_next_free_sgpr 6
		.amdhsa_accum_offset 20
		.amdhsa_reserve_vcc 1
		.amdhsa_float_round_mode_32 0
		.amdhsa_float_round_mode_16_64 0
		.amdhsa_float_denorm_mode_32 3
		.amdhsa_float_denorm_mode_16_64 3
		.amdhsa_dx10_clamp 1
		.amdhsa_ieee_mode 1
		.amdhsa_fp16_overflow 0
		.amdhsa_tg_split 0
		.amdhsa_exception_fp_ieee_invalid_op 0
		.amdhsa_exception_fp_denorm_src 0
		.amdhsa_exception_fp_ieee_div_zero 0
		.amdhsa_exception_fp_ieee_overflow 0
		.amdhsa_exception_fp_ieee_underflow 0
		.amdhsa_exception_fp_ieee_inexact 0
		.amdhsa_exception_int_div_zero 0
	.end_amdhsa_kernel
	.section	.text._ZN7rocprim17ROCPRIM_304000_NS6detail45device_block_merge_mergepath_partition_kernelINS1_37wrapped_merge_sort_block_merge_configINS0_14default_configEiN2at4cuda3cub6detail10OpaqueTypeILi4EEEEEPijNS1_19radix_merge_compareILb1ELb0EiNS0_19identity_decomposerEEEEEvT0_T1_jPSH_T2_SH_,"axG",@progbits,_ZN7rocprim17ROCPRIM_304000_NS6detail45device_block_merge_mergepath_partition_kernelINS1_37wrapped_merge_sort_block_merge_configINS0_14default_configEiN2at4cuda3cub6detail10OpaqueTypeILi4EEEEEPijNS1_19radix_merge_compareILb1ELb0EiNS0_19identity_decomposerEEEEEvT0_T1_jPSH_T2_SH_,comdat
.Lfunc_end2:
	.size	_ZN7rocprim17ROCPRIM_304000_NS6detail45device_block_merge_mergepath_partition_kernelINS1_37wrapped_merge_sort_block_merge_configINS0_14default_configEiN2at4cuda3cub6detail10OpaqueTypeILi4EEEEEPijNS1_19radix_merge_compareILb1ELb0EiNS0_19identity_decomposerEEEEEvT0_T1_jPSH_T2_SH_, .Lfunc_end2-_ZN7rocprim17ROCPRIM_304000_NS6detail45device_block_merge_mergepath_partition_kernelINS1_37wrapped_merge_sort_block_merge_configINS0_14default_configEiN2at4cuda3cub6detail10OpaqueTypeILi4EEEEEPijNS1_19radix_merge_compareILb1ELb0EiNS0_19identity_decomposerEEEEEvT0_T1_jPSH_T2_SH_
                                        ; -- End function
	.set _ZN7rocprim17ROCPRIM_304000_NS6detail45device_block_merge_mergepath_partition_kernelINS1_37wrapped_merge_sort_block_merge_configINS0_14default_configEiN2at4cuda3cub6detail10OpaqueTypeILi4EEEEEPijNS1_19radix_merge_compareILb1ELb0EiNS0_19identity_decomposerEEEEEvT0_T1_jPSH_T2_SH_.num_vgpr, 17
	.set _ZN7rocprim17ROCPRIM_304000_NS6detail45device_block_merge_mergepath_partition_kernelINS1_37wrapped_merge_sort_block_merge_configINS0_14default_configEiN2at4cuda3cub6detail10OpaqueTypeILi4EEEEEPijNS1_19radix_merge_compareILb1ELb0EiNS0_19identity_decomposerEEEEEvT0_T1_jPSH_T2_SH_.num_agpr, 0
	.set _ZN7rocprim17ROCPRIM_304000_NS6detail45device_block_merge_mergepath_partition_kernelINS1_37wrapped_merge_sort_block_merge_configINS0_14default_configEiN2at4cuda3cub6detail10OpaqueTypeILi4EEEEEPijNS1_19radix_merge_compareILb1ELb0EiNS0_19identity_decomposerEEEEEvT0_T1_jPSH_T2_SH_.numbered_sgpr, 6
	.set _ZN7rocprim17ROCPRIM_304000_NS6detail45device_block_merge_mergepath_partition_kernelINS1_37wrapped_merge_sort_block_merge_configINS0_14default_configEiN2at4cuda3cub6detail10OpaqueTypeILi4EEEEEPijNS1_19radix_merge_compareILb1ELb0EiNS0_19identity_decomposerEEEEEvT0_T1_jPSH_T2_SH_.num_named_barrier, 0
	.set _ZN7rocprim17ROCPRIM_304000_NS6detail45device_block_merge_mergepath_partition_kernelINS1_37wrapped_merge_sort_block_merge_configINS0_14default_configEiN2at4cuda3cub6detail10OpaqueTypeILi4EEEEEPijNS1_19radix_merge_compareILb1ELb0EiNS0_19identity_decomposerEEEEEvT0_T1_jPSH_T2_SH_.private_seg_size, 0
	.set _ZN7rocprim17ROCPRIM_304000_NS6detail45device_block_merge_mergepath_partition_kernelINS1_37wrapped_merge_sort_block_merge_configINS0_14default_configEiN2at4cuda3cub6detail10OpaqueTypeILi4EEEEEPijNS1_19radix_merge_compareILb1ELb0EiNS0_19identity_decomposerEEEEEvT0_T1_jPSH_T2_SH_.uses_vcc, 1
	.set _ZN7rocprim17ROCPRIM_304000_NS6detail45device_block_merge_mergepath_partition_kernelINS1_37wrapped_merge_sort_block_merge_configINS0_14default_configEiN2at4cuda3cub6detail10OpaqueTypeILi4EEEEEPijNS1_19radix_merge_compareILb1ELb0EiNS0_19identity_decomposerEEEEEvT0_T1_jPSH_T2_SH_.uses_flat_scratch, 0
	.set _ZN7rocprim17ROCPRIM_304000_NS6detail45device_block_merge_mergepath_partition_kernelINS1_37wrapped_merge_sort_block_merge_configINS0_14default_configEiN2at4cuda3cub6detail10OpaqueTypeILi4EEEEEPijNS1_19radix_merge_compareILb1ELb0EiNS0_19identity_decomposerEEEEEvT0_T1_jPSH_T2_SH_.has_dyn_sized_stack, 0
	.set _ZN7rocprim17ROCPRIM_304000_NS6detail45device_block_merge_mergepath_partition_kernelINS1_37wrapped_merge_sort_block_merge_configINS0_14default_configEiN2at4cuda3cub6detail10OpaqueTypeILi4EEEEEPijNS1_19radix_merge_compareILb1ELb0EiNS0_19identity_decomposerEEEEEvT0_T1_jPSH_T2_SH_.has_recursion, 0
	.set _ZN7rocprim17ROCPRIM_304000_NS6detail45device_block_merge_mergepath_partition_kernelINS1_37wrapped_merge_sort_block_merge_configINS0_14default_configEiN2at4cuda3cub6detail10OpaqueTypeILi4EEEEEPijNS1_19radix_merge_compareILb1ELb0EiNS0_19identity_decomposerEEEEEvT0_T1_jPSH_T2_SH_.has_indirect_call, 0
	.section	.AMDGPU.csdata,"",@progbits
; Kernel info:
; codeLenInByte = 320
; TotalNumSgprs: 12
; NumVgprs: 17
; NumAgprs: 0
; TotalNumVgprs: 17
; ScratchSize: 0
; MemoryBound: 0
; FloatMode: 240
; IeeeMode: 1
; LDSByteSize: 0 bytes/workgroup (compile time only)
; SGPRBlocks: 1
; VGPRBlocks: 2
; NumSGPRsForWavesPerEU: 12
; NumVGPRsForWavesPerEU: 17
; AccumOffset: 20
; Occupancy: 8
; WaveLimiterHint : 0
; COMPUTE_PGM_RSRC2:SCRATCH_EN: 0
; COMPUTE_PGM_RSRC2:USER_SGPR: 2
; COMPUTE_PGM_RSRC2:TRAP_HANDLER: 0
; COMPUTE_PGM_RSRC2:TGID_X_EN: 1
; COMPUTE_PGM_RSRC2:TGID_Y_EN: 0
; COMPUTE_PGM_RSRC2:TGID_Z_EN: 0
; COMPUTE_PGM_RSRC2:TIDIG_COMP_CNT: 0
; COMPUTE_PGM_RSRC3_GFX90A:ACCUM_OFFSET: 4
; COMPUTE_PGM_RSRC3_GFX90A:TG_SPLIT: 0
	.section	.text._ZN7rocprim17ROCPRIM_304000_NS6detail35device_block_merge_mergepath_kernelINS1_37wrapped_merge_sort_block_merge_configINS0_14default_configEiN2at4cuda3cub6detail10OpaqueTypeILi4EEEEEPiSC_PSA_SD_jNS1_19radix_merge_compareILb1ELb0EiNS0_19identity_decomposerEEEEEvT0_T1_T2_T3_T4_SL_jT5_PKSL_NS1_7vsmem_tE,"axG",@progbits,_ZN7rocprim17ROCPRIM_304000_NS6detail35device_block_merge_mergepath_kernelINS1_37wrapped_merge_sort_block_merge_configINS0_14default_configEiN2at4cuda3cub6detail10OpaqueTypeILi4EEEEEPiSC_PSA_SD_jNS1_19radix_merge_compareILb1ELb0EiNS0_19identity_decomposerEEEEEvT0_T1_T2_T3_T4_SL_jT5_PKSL_NS1_7vsmem_tE,comdat
	.protected	_ZN7rocprim17ROCPRIM_304000_NS6detail35device_block_merge_mergepath_kernelINS1_37wrapped_merge_sort_block_merge_configINS0_14default_configEiN2at4cuda3cub6detail10OpaqueTypeILi4EEEEEPiSC_PSA_SD_jNS1_19radix_merge_compareILb1ELb0EiNS0_19identity_decomposerEEEEEvT0_T1_T2_T3_T4_SL_jT5_PKSL_NS1_7vsmem_tE ; -- Begin function _ZN7rocprim17ROCPRIM_304000_NS6detail35device_block_merge_mergepath_kernelINS1_37wrapped_merge_sort_block_merge_configINS0_14default_configEiN2at4cuda3cub6detail10OpaqueTypeILi4EEEEEPiSC_PSA_SD_jNS1_19radix_merge_compareILb1ELb0EiNS0_19identity_decomposerEEEEEvT0_T1_T2_T3_T4_SL_jT5_PKSL_NS1_7vsmem_tE
	.globl	_ZN7rocprim17ROCPRIM_304000_NS6detail35device_block_merge_mergepath_kernelINS1_37wrapped_merge_sort_block_merge_configINS0_14default_configEiN2at4cuda3cub6detail10OpaqueTypeILi4EEEEEPiSC_PSA_SD_jNS1_19radix_merge_compareILb1ELb0EiNS0_19identity_decomposerEEEEEvT0_T1_T2_T3_T4_SL_jT5_PKSL_NS1_7vsmem_tE
	.p2align	8
	.type	_ZN7rocprim17ROCPRIM_304000_NS6detail35device_block_merge_mergepath_kernelINS1_37wrapped_merge_sort_block_merge_configINS0_14default_configEiN2at4cuda3cub6detail10OpaqueTypeILi4EEEEEPiSC_PSA_SD_jNS1_19radix_merge_compareILb1ELb0EiNS0_19identity_decomposerEEEEEvT0_T1_T2_T3_T4_SL_jT5_PKSL_NS1_7vsmem_tE,@function
_ZN7rocprim17ROCPRIM_304000_NS6detail35device_block_merge_mergepath_kernelINS1_37wrapped_merge_sort_block_merge_configINS0_14default_configEiN2at4cuda3cub6detail10OpaqueTypeILi4EEEEEPiSC_PSA_SD_jNS1_19radix_merge_compareILb1ELb0EiNS0_19identity_decomposerEEEEEvT0_T1_T2_T3_T4_SL_jT5_PKSL_NS1_7vsmem_tE: ; @_ZN7rocprim17ROCPRIM_304000_NS6detail35device_block_merge_mergepath_kernelINS1_37wrapped_merge_sort_block_merge_configINS0_14default_configEiN2at4cuda3cub6detail10OpaqueTypeILi4EEEEEPiSC_PSA_SD_jNS1_19radix_merge_compareILb1ELb0EiNS0_19identity_decomposerEEEEEvT0_T1_T2_T3_T4_SL_jT5_PKSL_NS1_7vsmem_tE
; %bb.0:
	s_load_dwordx2 s[34:35], s[0:1], 0x40
	s_load_dwordx4 s[16:19], s[0:1], 0x20
	s_add_u32 s30, s0, 64
	s_addc_u32 s31, s1, 0
	s_waitcnt lgkmcnt(0)
	s_mul_i32 s4, s35, s4
	s_add_i32 s3, s4, s3
	s_mul_i32 s3, s3, s34
	s_add_i32 s6, s3, s2
	s_cmp_ge_u32 s6, s18
	s_cbranch_scc1 .LBB3_67
; %bb.1:
	s_load_dwordx8 s[8:15], s[0:1], 0x0
	s_load_dwordx2 s[4:5], s[0:1], 0x30
	s_lshr_b32 s35, s16, 10
	s_cmp_lg_u32 s6, s35
	s_mov_b32 s7, 0
	s_cselect_b64 s[20:21], -1, 0
	s_lshl_b64 s[0:1], s[6:7], 2
	s_waitcnt lgkmcnt(0)
	s_add_u32 s0, s4, s0
	s_addc_u32 s1, s5, s1
	s_load_dwordx2 s[22:23], s[0:1], 0x0
	s_lshr_b32 s0, s17, 9
	s_and_b32 s0, s0, 0x7ffffe
	s_sub_i32 s0, 0, s0
	s_and_b32 s1, s6, s0
	s_lshl_b32 s3, s1, 10
	s_lshl_b32 s18, s6, 10
	;; [unrolled: 1-line block ×3, first 2 shown]
	s_sub_i32 s4, s18, s3
	s_add_i32 s1, s1, s17
	s_add_i32 s4, s1, s4
	s_waitcnt lgkmcnt(0)
	s_sub_i32 s5, s4, s22
	s_sub_i32 s4, s4, s23
	;; [unrolled: 1-line block ×3, first 2 shown]
	s_min_u32 s24, s16, s5
	s_addk_i32 s4, 0x400
	s_or_b32 s0, s6, s0
	s_min_u32 s3, s16, s1
	s_add_i32 s1, s1, s17
	s_cmp_eq_u32 s0, -1
	s_cselect_b32 s0, s1, s4
	s_cselect_b32 s1, s3, s23
	s_min_u32 s0, s0, s16
	s_mov_b32 s23, s7
	s_sub_i32 s19, s1, s22
	s_sub_i32 s33, s0, s24
	s_lshl_b64 s[26:27], s[22:23], 2
	s_add_u32 s0, s8, s26
	s_mov_b32 s25, s7
	s_addc_u32 s1, s9, s27
	s_lshl_b64 s[28:29], s[24:25], 2
	s_add_u32 s4, s8, s28
	s_addc_u32 s5, s9, s29
	s_cmp_lt_u32 s2, s34
	v_mov_b32_e32 v7, 0
	s_cselect_b32 s2, 12, 18
	global_load_dword v1, v7, s[30:31] offset:14
	s_add_u32 s2, s30, s2
	s_addc_u32 s3, s31, 0
	global_load_ushort v2, v7, s[2:3]
	v_cmp_gt_u32_e32 vcc, s19, v0
	s_cmp_eq_u32 s6, s35
	v_lshlrev_b32_e32 v6, 2, v0
	s_waitcnt vmcnt(1)
	v_lshrrev_b32_e32 v3, 16, v1
	v_and_b32_e32 v1, 0xffff, v1
	v_mul_lo_u32 v1, v1, v3
	s_waitcnt vmcnt(0)
	v_mul_lo_u32 v1, v1, v2
	v_add_u32_e32 v8, v1, v0
	s_cbranch_scc1 .LBB3_3
; %bb.2:
	v_subrev_u32_e32 v4, s19, v0
	v_lshlrev_b32_e32 v4, 2, v4
	v_mov_b32_e32 v5, v7
	v_lshl_add_u64 v[2:3], s[0:1], 0, v[6:7]
	v_lshl_add_u64 v[4:5], s[4:5], 0, v[4:5]
	v_cndmask_b32_e32 v3, v5, v3, vcc
	v_cndmask_b32_e32 v2, v4, v2, vcc
	v_mov_b32_e32 v9, v7
	v_subrev_co_u32_e32 v10, vcc, s19, v8
	v_mov_b32_e32 v11, v7
	v_lshl_add_u64 v[4:5], v[8:9], 2, s[0:1]
	v_lshl_add_u64 v[10:11], v[10:11], 2, s[4:5]
	v_cndmask_b32_e32 v4, v10, v4, vcc
	v_add_u32_e32 v10, v8, v1
	v_cndmask_b32_e32 v5, v11, v5, vcc
	v_mov_b32_e32 v11, v7
	v_subrev_co_u32_e32 v12, vcc, s19, v10
	v_mov_b32_e32 v13, v7
	global_load_dword v2, v[2:3], off
	v_lshl_add_u64 v[12:13], v[12:13], 2, s[4:5]
	global_load_dword v3, v[4:5], off
	v_lshl_add_u64 v[4:5], v[10:11], 2, s[0:1]
	v_add_u32_e32 v10, v10, v1
	v_cndmask_b32_e32 v5, v13, v5, vcc
	v_cndmask_b32_e32 v4, v12, v4, vcc
	v_lshl_add_u64 v[12:13], v[10:11], 2, s[0:1]
	v_subrev_co_u32_e32 v10, vcc, s19, v10
	v_lshl_add_u64 v[10:11], v[10:11], 2, s[4:5]
	s_nop 0
	v_cndmask_b32_e32 v11, v11, v13, vcc
	v_cndmask_b32_e32 v10, v10, v12, vcc
	global_load_dword v4, v[4:5], off
	s_add_i32 s17, s33, s19
	global_load_dword v5, v[10:11], off
	s_cbranch_execz .LBB3_4
	s_branch .LBB3_13
.LBB3_3:
                                        ; implicit-def: $vgpr2_vgpr3_vgpr4_vgpr5
                                        ; implicit-def: $sgpr17
.LBB3_4:
	s_add_i32 s17, s33, s19
	s_waitcnt vmcnt(3)
	v_mov_b32_e32 v2, 0
	v_cmp_gt_u32_e32 vcc, s17, v0
	s_waitcnt vmcnt(2)
	v_mov_b32_e32 v3, v2
	s_waitcnt vmcnt(1)
	v_mov_b32_e32 v4, v2
	;; [unrolled: 2-line block ×3, first 2 shown]
	s_and_saveexec_b64 s[2:3], vcc
	s_cbranch_execz .LBB3_6
; %bb.5:
	v_subrev_u32_e32 v3, s19, v0
	v_mov_b32_e32 v7, v2
	v_lshlrev_b32_e32 v10, 2, v3
	v_mov_b32_e32 v11, v2
	v_lshl_add_u64 v[4:5], s[0:1], 0, v[6:7]
	v_lshl_add_u64 v[10:11], s[4:5], 0, v[10:11]
	v_cmp_gt_u32_e32 vcc, s19, v0
	v_mov_b32_e32 v12, v2
	v_mov_b32_e32 v13, v2
	v_cndmask_b32_e32 v5, v11, v5, vcc
	v_cndmask_b32_e32 v4, v10, v4, vcc
	global_load_dword v10, v[4:5], off
	v_mov_b32_e32 v11, v2
	s_waitcnt vmcnt(0)
	v_mov_b64_e32 v[2:3], v[10:11]
	v_mov_b64_e32 v[4:5], v[12:13]
.LBB3_6:
	s_or_b64 exec, exec, s[2:3]
	v_cmp_gt_u32_e32 vcc, s17, v8
	s_and_saveexec_b64 s[2:3], vcc
	s_cbranch_execz .LBB3_8
; %bb.7:
	v_mov_b32_e32 v9, 0
	v_subrev_co_u32_e32 v12, vcc, s19, v8
	v_mov_b32_e32 v13, v9
	v_lshl_add_u64 v[10:11], v[8:9], 2, s[0:1]
	v_lshl_add_u64 v[12:13], v[12:13], 2, s[4:5]
	v_cndmask_b32_e32 v11, v13, v11, vcc
	v_cndmask_b32_e32 v10, v12, v10, vcc
	global_load_dword v3, v[10:11], off
.LBB3_8:
	s_or_b64 exec, exec, s[2:3]
	v_add_u32_e32 v8, v8, v1
	v_cmp_gt_u32_e32 vcc, s17, v8
	s_and_saveexec_b64 s[2:3], vcc
	s_cbranch_execz .LBB3_10
; %bb.9:
	v_mov_b32_e32 v9, 0
	v_subrev_co_u32_e32 v12, vcc, s19, v8
	v_mov_b32_e32 v13, v9
	v_lshl_add_u64 v[10:11], v[8:9], 2, s[0:1]
	v_lshl_add_u64 v[12:13], v[12:13], 2, s[4:5]
	v_cndmask_b32_e32 v11, v13, v11, vcc
	v_cndmask_b32_e32 v10, v12, v10, vcc
	global_load_dword v4, v[10:11], off
.LBB3_10:
	s_or_b64 exec, exec, s[2:3]
	v_add_u32_e32 v8, v8, v1
	v_cmp_gt_u32_e32 vcc, s17, v8
	s_and_saveexec_b64 s[2:3], vcc
	s_cbranch_execz .LBB3_12
; %bb.11:
	v_mov_b32_e32 v9, 0
	v_lshl_add_u64 v[10:11], v[8:9], 2, s[0:1]
	v_subrev_co_u32_e32 v8, vcc, s19, v8
	v_lshl_add_u64 v[8:9], v[8:9], 2, s[4:5]
	s_nop 0
	v_cndmask_b32_e32 v9, v9, v11, vcc
	v_cndmask_b32_e32 v8, v8, v10, vcc
	global_load_dword v5, v[8:9], off
.LBB3_12:
	s_or_b64 exec, exec, s[2:3]
.LBB3_13:
	v_min_u32_e32 v1, s17, v6
	v_sub_u32_e64 v7, v1, s33 clamp
	v_min_u32_e32 v8, s19, v1
	v_cmp_lt_u32_e32 vcc, v7, v8
	s_waitcnt vmcnt(0)
	ds_write2st64_b32 v6, v2, v3 offset1:4
	ds_write2st64_b32 v6, v4, v5 offset0:8 offset1:12
	s_waitcnt lgkmcnt(0)
	s_barrier
	s_and_saveexec_b64 s[0:1], vcc
	s_cbranch_execz .LBB3_17
; %bb.14:
	v_lshlrev_b32_e32 v9, 2, v1
	v_lshl_add_u32 v9, s19, 2, v9
	s_mov_b64 s[2:3], 0
.LBB3_15:                               ; =>This Inner Loop Header: Depth=1
	v_add_u32_e32 v10, v8, v7
	v_lshrrev_b32_e32 v10, 1, v10
	v_not_b32_e32 v11, v10
	v_lshlrev_b32_e32 v12, 2, v10
	v_lshl_add_u32 v11, v11, 2, v9
	ds_read_b32 v12, v12
	ds_read_b32 v11, v11
	v_add_u32_e32 v13, 1, v10
	s_waitcnt lgkmcnt(0)
	v_cmp_gt_i32_e32 vcc, v11, v12
	s_nop 1
	v_cndmask_b32_e32 v8, v8, v10, vcc
	v_cndmask_b32_e32 v7, v13, v7, vcc
	v_cmp_ge_u32_e32 vcc, v7, v8
	s_or_b64 s[2:3], vcc, s[2:3]
	s_andn2_b64 exec, exec, s[2:3]
	s_cbranch_execnz .LBB3_15
; %bb.16:
	s_or_b64 exec, exec, s[2:3]
.LBB3_17:
	s_or_b64 exec, exec, s[0:1]
	v_sub_u32_e32 v1, v1, v7
	v_add_u32_e32 v8, s19, v1
	v_cmp_ge_u32_e32 vcc, s19, v7
	v_cmp_ge_u32_e64 s[0:1], s17, v8
	s_or_b64 s[0:1], vcc, s[0:1]
	v_mov_b32_e32 v1, 0
	v_mov_b32_e32 v12, 0
	;; [unrolled: 1-line block ×4, first 2 shown]
	s_and_saveexec_b64 s[8:9], s[0:1]
	s_cbranch_execz .LBB3_23
; %bb.18:
	v_cmp_gt_u32_e32 vcc, s19, v7
                                        ; implicit-def: $vgpr1
	s_and_saveexec_b64 s[0:1], vcc
; %bb.19:
	v_lshlrev_b32_e32 v1, 2, v7
	ds_read_b32 v1, v1
; %bb.20:
	s_or_b64 exec, exec, s[0:1]
	v_cmp_le_u32_e64 s[0:1], s17, v8
	v_cmp_gt_u32_e64 s[2:3], s17, v8
                                        ; implicit-def: $vgpr2
	s_and_saveexec_b64 s[4:5], s[2:3]
; %bb.21:
	v_lshlrev_b32_e32 v2, 2, v8
	ds_read_b32 v2, v2
; %bb.22:
	s_or_b64 exec, exec, s[4:5]
	s_waitcnt lgkmcnt(0)
	v_cmp_le_i32_e64 s[2:3], v2, v1
	s_and_b64 s[2:3], vcc, s[2:3]
	s_or_b64 vcc, s[0:1], s[2:3]
	v_mov_b32_e32 v3, s17
	v_mov_b32_e32 v4, s19
	v_cndmask_b32_e32 v14, v8, v7, vcc
	v_cndmask_b32_e32 v5, v3, v4, vcc
	v_add_u32_e32 v9, 1, v14
	v_add_u32_e32 v5, -1, v5
	v_min_u32_e32 v5, v9, v5
	v_lshlrev_b32_e32 v5, 2, v5
	ds_read_b32 v5, v5
	v_cndmask_b32_e32 v7, v7, v9, vcc
	v_cndmask_b32_e32 v8, v9, v8, vcc
	v_cmp_gt_u32_e64 s[2:3], s19, v7
	v_cmp_le_u32_e64 s[0:1], s17, v8
	s_waitcnt lgkmcnt(0)
	v_cndmask_b32_e32 v10, v5, v2, vcc
	v_cndmask_b32_e32 v5, v1, v5, vcc
	v_cmp_le_i32_e64 s[4:5], v10, v5
	s_and_b64 s[2:3], s[2:3], s[4:5]
	s_or_b64 s[0:1], s[0:1], s[2:3]
	v_cndmask_b32_e64 v13, v8, v7, s[0:1]
	v_cndmask_b32_e64 v9, v3, v4, s[0:1]
	v_add_u32_e32 v11, 1, v13
	v_add_u32_e32 v9, -1, v9
	v_min_u32_e32 v9, v11, v9
	v_lshlrev_b32_e32 v9, 2, v9
	ds_read_b32 v9, v9
	v_cndmask_b32_e64 v7, v7, v11, s[0:1]
	v_cndmask_b32_e64 v8, v11, v8, s[0:1]
	v_cmp_gt_u32_e64 s[4:5], s19, v7
	v_cmp_le_u32_e64 s[2:3], s17, v8
	s_waitcnt lgkmcnt(0)
	v_cndmask_b32_e64 v15, v9, v10, s[0:1]
	v_cndmask_b32_e64 v9, v5, v9, s[0:1]
	v_cmp_le_i32_e64 s[6:7], v15, v9
	s_and_b64 s[4:5], s[4:5], s[6:7]
	s_or_b64 s[2:3], s[2:3], s[4:5]
	v_cndmask_b32_e64 v12, v8, v7, s[2:3]
	v_cndmask_b32_e64 v3, v3, v4, s[2:3]
	v_add_u32_e32 v11, 1, v12
	v_add_u32_e32 v3, -1, v3
	v_min_u32_e32 v3, v11, v3
	v_lshlrev_b32_e32 v3, 2, v3
	ds_read_b32 v16, v3
	v_cndmask_b32_e64 v3, v10, v5, s[0:1]
	v_cndmask_b32_e64 v4, v15, v9, s[2:3]
	;; [unrolled: 1-line block ×3, first 2 shown]
	v_cndmask_b32_e32 v2, v2, v1, vcc
	s_waitcnt lgkmcnt(0)
	v_cndmask_b32_e64 v5, v16, v15, s[2:3]
	v_cndmask_b32_e64 v9, v9, v16, s[2:3]
	v_cndmask_b32_e64 v1, v11, v8, s[2:3]
	v_cmp_gt_u32_e64 s[0:1], s19, v7
	v_cmp_le_i32_e64 s[2:3], v5, v9
	v_cmp_le_u32_e32 vcc, s17, v1
	s_and_b64 s[0:1], s[0:1], s[2:3]
	s_or_b64 vcc, vcc, s[0:1]
	v_cndmask_b32_e32 v1, v1, v7, vcc
	v_cndmask_b32_e32 v5, v5, v9, vcc
.LBB3_23:
	s_or_b64 exec, exec, s[8:9]
	s_add_u32 s8, s12, s26
	s_addc_u32 s9, s13, s27
	s_add_u32 s6, s12, s28
	v_cndmask_b32_e64 v7, 0, 1, s[20:21]
	v_mov_b32_e32 v9, 0
	s_addc_u32 s7, s13, s29
	v_cmp_gt_u32_e64 s[4:5], s19, v0
	v_cmp_ne_u32_e64 s[0:1], 1, v7
	s_andn2_b64 vcc, exec, s[20:21]
	v_cmp_le_u32_e64 s[2:3], s19, v0
	s_barrier
	s_cbranch_vccnz .LBB3_25
; %bb.24:
	v_subrev_u32_e32 v7, s19, v0
	v_lshlrev_b32_e32 v8, 2, v7
	v_mov_b32_e32 v7, v9
	v_lshl_add_u64 v[16:17], s[8:9], 0, v[6:7]
	v_or_b32_e32 v7, 0x100, v0
	v_lshl_add_u64 v[10:11], s[6:7], 0, v[8:9]
	v_subrev_u32_e32 v8, s19, v7
	v_cndmask_b32_e64 v11, v11, v17, s[4:5]
	v_cndmask_b32_e64 v10, v10, v16, s[4:5]
	v_min_u32_e32 v8, v7, v8
	v_mov_b32_e32 v16, s7
	v_mov_b32_e32 v17, s9
	v_cmp_gt_u32_e32 vcc, s19, v7
	v_mov_b32_e32 v18, s6
	v_mov_b32_e32 v19, s8
	global_load_dword v15, v[10:11], off
	v_cndmask_b32_e32 v11, v16, v17, vcc
	v_cndmask_b32_e32 v10, v18, v19, vcc
	v_lshlrev_b32_e32 v8, 2, v8
	v_or_b32_e32 v7, 0x200, v0
	v_lshl_add_u64 v[10:11], v[10:11], 0, v[8:9]
	v_subrev_u32_e32 v8, s19, v7
	v_min_u32_e32 v8, v7, v8
	v_cmp_gt_u32_e32 vcc, s19, v7
	global_load_dword v20, v[10:11], off
	v_lshlrev_b32_e32 v8, 2, v8
	v_cndmask_b32_e32 v11, v16, v17, vcc
	v_cndmask_b32_e32 v10, v18, v19, vcc
	v_lshl_add_u64 v[8:9], v[10:11], 0, v[8:9]
	global_load_dword v11, v[8:9], off
	v_or_b32_e32 v7, 0x300, v0
	v_subrev_u32_e32 v8, s19, v7
	v_cmp_gt_u32_e32 vcc, s19, v7
	v_min_u32_e32 v10, v7, v8
	s_nop 0
	v_cndmask_b32_e32 v9, v16, v17, vcc
	v_cndmask_b32_e32 v8, v18, v19, vcc
	s_mov_b64 s[4:5], -1
	s_waitcnt vmcnt(1)
	ds_write2st64_b32 v6, v15, v20 offset1:4
	s_waitcnt vmcnt(0)
	ds_write_b32 v6, v11 offset:2048
	s_cbranch_execz .LBB3_26
	s_branch .LBB3_41
.LBB3_25:
	s_mov_b64 s[4:5], 0
                                        ; implicit-def: $vgpr7
                                        ; implicit-def: $vgpr8_vgpr9
                                        ; implicit-def: $vgpr10
.LBB3_26:
	s_mov_b64 s[4:5], 0
                                        ; implicit-def: $vgpr8_vgpr9
	s_and_saveexec_b64 s[26:27], s[2:3]
	s_xor_b64 s[2:3], exec, s[26:27]
	s_cbranch_execnz .LBB3_68
; %bb.27:
	s_andn2_saveexec_b64 s[2:3], s[2:3]
	s_cbranch_execnz .LBB3_71
.LBB3_28:
	s_or_b64 exec, exec, s[2:3]
	s_and_saveexec_b64 s[2:3], s[4:5]
	s_cbranch_execz .LBB3_30
.LBB3_29:
	global_load_dword v7, v[8:9], off
	s_waitcnt vmcnt(0)
	ds_write_b32 v6, v7
.LBB3_30:
	s_or_b64 exec, exec, s[2:3]
	v_or_b32_e32 v7, 0x100, v0
	v_cmp_le_u32_e32 vcc, s19, v7
	s_mov_b64 s[2:3], -1
	v_mov_b64_e32 v[8:9], s[22:23]
	s_and_saveexec_b64 s[4:5], vcc
; %bb.31:
	v_subrev_u32_e32 v7, s19, v7
	v_cmp_gt_u32_e32 vcc, s33, v7
	v_mov_b64_e32 v[8:9], s[24:25]
	s_orn2_b64 s[2:3], vcc, exec
; %bb.32:
	s_or_b64 exec, exec, s[4:5]
	s_and_saveexec_b64 s[4:5], s[2:3]
	s_cbranch_execz .LBB3_34
; %bb.33:
	v_lshl_add_u64 v[8:9], v[8:9], 2, s[12:13]
	v_lshlrev_b32_e32 v10, 2, v7
	v_mov_b32_e32 v11, 0
	v_lshl_add_u64 v[8:9], v[8:9], 0, v[10:11]
	global_load_dword v7, v[8:9], off
	s_waitcnt vmcnt(0)
	ds_write_b32 v6, v7 offset:1024
.LBB3_34:
	s_or_b64 exec, exec, s[4:5]
	v_or_b32_e32 v7, 0x200, v0
	v_cmp_le_u32_e32 vcc, s19, v7
	s_mov_b64 s[2:3], -1
	v_mov_b64_e32 v[8:9], s[22:23]
	s_and_saveexec_b64 s[4:5], vcc
; %bb.35:
	v_subrev_u32_e32 v7, s19, v7
	v_cmp_gt_u32_e32 vcc, s33, v7
	v_mov_b64_e32 v[8:9], s[24:25]
	s_orn2_b64 s[2:3], vcc, exec
; %bb.36:
	s_or_b64 exec, exec, s[4:5]
	s_and_saveexec_b64 s[4:5], s[2:3]
	s_cbranch_execz .LBB3_38
; %bb.37:
	v_lshl_add_u64 v[8:9], v[8:9], 2, s[12:13]
	v_lshlrev_b32_e32 v10, 2, v7
	v_mov_b32_e32 v11, 0
	v_lshl_add_u64 v[8:9], v[8:9], 0, v[10:11]
	global_load_dword v7, v[8:9], off
	s_waitcnt vmcnt(0)
	ds_write_b32 v6, v7 offset:2048
.LBB3_38:
	s_or_b64 exec, exec, s[4:5]
	v_or_b32_e32 v7, 0x300, v0
	v_cmp_le_u32_e32 vcc, s19, v7
	s_mov_b64 s[4:5], -1
	v_mov_b64_e32 v[8:9], s[8:9]
	v_mov_b32_e32 v10, v7
	s_and_saveexec_b64 s[2:3], vcc
; %bb.39:
	v_subrev_u32_e32 v10, s19, v7
	v_cmp_gt_u32_e32 vcc, s33, v10
	v_mov_b64_e32 v[8:9], s[6:7]
	s_orn2_b64 s[4:5], vcc, exec
; %bb.40:
	s_or_b64 exec, exec, s[2:3]
.LBB3_41:
	s_and_saveexec_b64 s[2:3], s[4:5]
	s_cbranch_execz .LBB3_43
; %bb.42:
	v_mov_b32_e32 v11, 0
	v_lshl_add_u64 v[8:9], v[10:11], 2, v[8:9]
	global_load_dword v8, v[8:9], off
	v_lshlrev_b32_e32 v7, 2, v7
	s_waitcnt vmcnt(0)
	ds_write_b32 v7, v8
.LBB3_43:
	s_or_b64 exec, exec, s[2:3]
	s_and_b64 vcc, exec, s[0:1]
	v_add_u32_e32 v8, s18, v6
	s_waitcnt lgkmcnt(0)
	s_barrier
	s_cbranch_vccnz .LBB3_45
; %bb.44:
	v_lshlrev_b32_e32 v7, 2, v14
	v_lshlrev_b32_e32 v9, 2, v13
	;; [unrolled: 1-line block ×3, first 2 shown]
	ds_read_b32 v16, v7
	ds_read_b32 v17, v9
	;; [unrolled: 1-line block ×3, first 2 shown]
	v_mov_b32_e32 v9, 0
	v_lshl_add_u64 v[10:11], v[8:9], 2, s[14:15]
	s_mov_b64 s[0:1], -1
	s_waitcnt lgkmcnt(0)
	global_store_dwordx3 v[10:11], v[16:18], off
	s_cbranch_execz .LBB3_46
	s_branch .LBB3_55
.LBB3_45:
	s_mov_b64 s[0:1], 0
.LBB3_46:
	v_cmp_gt_u32_e32 vcc, s17, v6
	s_and_saveexec_b64 s[2:3], vcc
	s_cbranch_execz .LBB3_48
; %bb.47:
	v_lshlrev_b32_e32 v7, 2, v14
	ds_read_b32 v7, v7
	v_mov_b32_e32 v9, 0
	v_lshl_add_u64 v[10:11], v[8:9], 2, s[14:15]
	s_waitcnt lgkmcnt(0)
	global_store_dword v[10:11], v7, off
.LBB3_48:
	s_or_b64 exec, exec, s[2:3]
	v_or_b32_e32 v7, 1, v6
	v_cmp_gt_u32_e32 vcc, s17, v7
	s_and_saveexec_b64 s[2:3], vcc
	s_cbranch_execz .LBB3_50
; %bb.49:
	v_lshlrev_b32_e32 v7, 2, v13
	ds_read_b32 v7, v7
	v_mov_b32_e32 v9, 0
	v_lshl_add_u64 v[10:11], v[8:9], 2, s[14:15]
	s_waitcnt lgkmcnt(0)
	global_store_dword v[10:11], v7, off offset:4
.LBB3_50:
	s_or_b64 exec, exec, s[2:3]
	v_or_b32_e32 v7, 2, v6
	v_cmp_gt_u32_e32 vcc, s17, v7
	s_and_saveexec_b64 s[2:3], vcc
	s_cbranch_execz .LBB3_52
; %bb.51:
	v_lshlrev_b32_e32 v7, 2, v12
	ds_read_b32 v7, v7
	v_mov_b32_e32 v9, 0
	v_lshl_add_u64 v[10:11], v[8:9], 2, s[14:15]
	s_waitcnt lgkmcnt(0)
	global_store_dword v[10:11], v7, off offset:8
.LBB3_52:
	s_or_b64 exec, exec, s[2:3]
	v_or_b32_e32 v7, 3, v6
	v_cmp_gt_u32_e32 vcc, s17, v7
	s_and_saveexec_b64 s[2:3], vcc
; %bb.53:
	v_mov_b32_e32 v9, 0
	s_or_b64 s[0:1], s[0:1], exec
; %bb.54:
	s_or_b64 exec, exec, s[2:3]
.LBB3_55:
	s_and_saveexec_b64 s[2:3], s[0:1]
	s_cbranch_execz .LBB3_57
; %bb.56:
	v_lshlrev_b32_e32 v1, 2, v1
	ds_read_b32 v1, v1
	v_lshl_add_u64 v[8:9], v[8:9], 2, s[14:15]
	s_waitcnt lgkmcnt(0)
	global_store_dword v[8:9], v1, off offset:12
.LBB3_57:
	s_or_b64 exec, exec, s[2:3]
	v_lshrrev_b32_e32 v1, 3, v0
	v_lshlrev_b32_e32 v7, 2, v6
	v_lshl_add_u32 v7, v1, 2, v7
	s_barrier
	s_barrier
	ds_write2_b32 v7, v2, v3 offset1:1
	ds_write2_b32 v7, v4, v5 offset0:2 offset1:3
	v_and_b32_e32 v1, 28, v1
	v_or_b32_e32 v5, 0x100, v0
	v_add_u32_e32 v8, v1, v6
	v_lshrrev_b32_e32 v1, 3, v5
	v_and_b32_e32 v1, 60, v1
	v_or_b32_e32 v4, 0x200, v0
	v_add_u32_e32 v9, v1, v6
	v_lshrrev_b32_e32 v1, 3, v4
	s_mov_b32 s19, 0
	v_and_b32_e32 v1, 0x5c, v1
	s_lshl_b64 s[0:1], s[18:19], 2
	v_add_u32_e32 v10, v1, v6
	v_or_b32_e32 v1, 0x300, v0
	s_add_u32 s0, s10, s0
	v_lshrrev_b32_e32 v2, 3, v1
	s_addc_u32 s1, s11, s1
	v_and_b32_e32 v2, 0x7c, v2
	v_mov_b32_e32 v7, 0
	v_add_u32_e32 v11, v2, v6
	v_lshl_add_u64 v[2:3], s[0:1], 0, v[6:7]
	s_and_b64 vcc, exec, s[20:21]
	s_waitcnt lgkmcnt(0)
	s_cbranch_vccz .LBB3_59
; %bb.58:
	s_barrier
	ds_read_b32 v6, v8
	ds_read_b32 v7, v9 offset:1024
	ds_read_b32 v13, v10 offset:2048
	;; [unrolled: 1-line block ×3, first 2 shown]
	s_waitcnt lgkmcnt(3)
	global_store_dword v[2:3], v6, off
	s_waitcnt lgkmcnt(2)
	global_store_dword v[2:3], v7, off offset:1024
	s_waitcnt lgkmcnt(1)
	global_store_dword v[2:3], v13, off offset:2048
	s_mov_b64 s[0:1], -1
	s_cbranch_execz .LBB3_60
	s_branch .LBB3_65
.LBB3_59:
	s_mov_b64 s[0:1], 0
                                        ; implicit-def: $vgpr12
.LBB3_60:
	s_barrier
	s_waitcnt lgkmcnt(0)
	ds_read_b32 v7, v9 offset:1024
	ds_read_b32 v6, v10 offset:2048
	;; [unrolled: 1-line block ×3, first 2 shown]
	s_sub_i32 s2, s16, s18
	v_cmp_gt_u32_e32 vcc, s2, v0
	s_and_saveexec_b64 s[0:1], vcc
	s_cbranch_execnz .LBB3_72
; %bb.61:
	s_or_b64 exec, exec, s[0:1]
	v_cmp_gt_u32_e32 vcc, s2, v5
	s_and_saveexec_b64 s[0:1], vcc
	s_cbranch_execnz .LBB3_73
.LBB3_62:
	s_or_b64 exec, exec, s[0:1]
	v_cmp_gt_u32_e32 vcc, s2, v4
	s_and_saveexec_b64 s[0:1], vcc
	s_cbranch_execz .LBB3_64
.LBB3_63:
	s_waitcnt lgkmcnt(1)
	global_store_dword v[2:3], v6, off offset:2048
.LBB3_64:
	s_or_b64 exec, exec, s[0:1]
	v_cmp_gt_u32_e64 s[0:1], s2, v1
.LBB3_65:
	s_and_saveexec_b64 s[2:3], s[0:1]
	s_cbranch_execz .LBB3_67
; %bb.66:
	s_waitcnt lgkmcnt(0)
	global_store_dword v[2:3], v12, off offset:3072
.LBB3_67:
	s_endpgm
.LBB3_68:
	v_subrev_u32_e32 v7, s19, v0
	v_cmp_gt_u32_e32 vcc, s33, v7
                                        ; implicit-def: $vgpr8_vgpr9
	s_and_saveexec_b64 s[26:27], vcc
	s_xor_b64 s[26:27], exec, s[26:27]
; %bb.69:
	v_lshlrev_b32_e32 v8, 2, v7
	v_mov_b32_e32 v9, 0
	s_mov_b64 s[4:5], exec
	v_lshl_add_u64 v[8:9], s[6:7], 0, v[8:9]
; %bb.70:
	s_or_b64 exec, exec, s[26:27]
	s_and_b64 s[4:5], s[4:5], exec
	s_andn2_saveexec_b64 s[2:3], s[2:3]
	s_cbranch_execz .LBB3_28
.LBB3_71:
	v_mov_b32_e32 v7, 0
	v_lshl_add_u64 v[8:9], s[8:9], 0, v[6:7]
	s_or_b64 s[4:5], s[4:5], exec
	s_or_b64 exec, exec, s[2:3]
	s_and_saveexec_b64 s[2:3], s[4:5]
	s_cbranch_execnz .LBB3_29
	s_branch .LBB3_30
.LBB3_72:
	ds_read_b32 v0, v8
	s_waitcnt lgkmcnt(0)
	global_store_dword v[2:3], v0, off
	s_or_b64 exec, exec, s[0:1]
	v_cmp_gt_u32_e32 vcc, s2, v5
	s_and_saveexec_b64 s[0:1], vcc
	s_cbranch_execz .LBB3_62
.LBB3_73:
	s_waitcnt lgkmcnt(2)
	global_store_dword v[2:3], v7, off offset:1024
	s_or_b64 exec, exec, s[0:1]
	v_cmp_gt_u32_e32 vcc, s2, v4
	s_and_saveexec_b64 s[0:1], vcc
	s_cbranch_execnz .LBB3_63
	s_branch .LBB3_64
	.section	.rodata,"a",@progbits
	.p2align	6, 0x0
	.amdhsa_kernel _ZN7rocprim17ROCPRIM_304000_NS6detail35device_block_merge_mergepath_kernelINS1_37wrapped_merge_sort_block_merge_configINS0_14default_configEiN2at4cuda3cub6detail10OpaqueTypeILi4EEEEEPiSC_PSA_SD_jNS1_19radix_merge_compareILb1ELb0EiNS0_19identity_decomposerEEEEEvT0_T1_T2_T3_T4_SL_jT5_PKSL_NS1_7vsmem_tE
		.amdhsa_group_segment_fixed_size 4224
		.amdhsa_private_segment_fixed_size 0
		.amdhsa_kernarg_size 320
		.amdhsa_user_sgpr_count 2
		.amdhsa_user_sgpr_dispatch_ptr 0
		.amdhsa_user_sgpr_queue_ptr 0
		.amdhsa_user_sgpr_kernarg_segment_ptr 1
		.amdhsa_user_sgpr_dispatch_id 0
		.amdhsa_user_sgpr_kernarg_preload_length 0
		.amdhsa_user_sgpr_kernarg_preload_offset 0
		.amdhsa_user_sgpr_private_segment_size 0
		.amdhsa_uses_dynamic_stack 0
		.amdhsa_enable_private_segment 0
		.amdhsa_system_sgpr_workgroup_id_x 1
		.amdhsa_system_sgpr_workgroup_id_y 1
		.amdhsa_system_sgpr_workgroup_id_z 1
		.amdhsa_system_sgpr_workgroup_info 0
		.amdhsa_system_vgpr_workitem_id 0
		.amdhsa_next_free_vgpr 21
		.amdhsa_next_free_sgpr 36
		.amdhsa_accum_offset 24
		.amdhsa_reserve_vcc 1
		.amdhsa_float_round_mode_32 0
		.amdhsa_float_round_mode_16_64 0
		.amdhsa_float_denorm_mode_32 3
		.amdhsa_float_denorm_mode_16_64 3
		.amdhsa_dx10_clamp 1
		.amdhsa_ieee_mode 1
		.amdhsa_fp16_overflow 0
		.amdhsa_tg_split 0
		.amdhsa_exception_fp_ieee_invalid_op 0
		.amdhsa_exception_fp_denorm_src 0
		.amdhsa_exception_fp_ieee_div_zero 0
		.amdhsa_exception_fp_ieee_overflow 0
		.amdhsa_exception_fp_ieee_underflow 0
		.amdhsa_exception_fp_ieee_inexact 0
		.amdhsa_exception_int_div_zero 0
	.end_amdhsa_kernel
	.section	.text._ZN7rocprim17ROCPRIM_304000_NS6detail35device_block_merge_mergepath_kernelINS1_37wrapped_merge_sort_block_merge_configINS0_14default_configEiN2at4cuda3cub6detail10OpaqueTypeILi4EEEEEPiSC_PSA_SD_jNS1_19radix_merge_compareILb1ELb0EiNS0_19identity_decomposerEEEEEvT0_T1_T2_T3_T4_SL_jT5_PKSL_NS1_7vsmem_tE,"axG",@progbits,_ZN7rocprim17ROCPRIM_304000_NS6detail35device_block_merge_mergepath_kernelINS1_37wrapped_merge_sort_block_merge_configINS0_14default_configEiN2at4cuda3cub6detail10OpaqueTypeILi4EEEEEPiSC_PSA_SD_jNS1_19radix_merge_compareILb1ELb0EiNS0_19identity_decomposerEEEEEvT0_T1_T2_T3_T4_SL_jT5_PKSL_NS1_7vsmem_tE,comdat
.Lfunc_end3:
	.size	_ZN7rocprim17ROCPRIM_304000_NS6detail35device_block_merge_mergepath_kernelINS1_37wrapped_merge_sort_block_merge_configINS0_14default_configEiN2at4cuda3cub6detail10OpaqueTypeILi4EEEEEPiSC_PSA_SD_jNS1_19radix_merge_compareILb1ELb0EiNS0_19identity_decomposerEEEEEvT0_T1_T2_T3_T4_SL_jT5_PKSL_NS1_7vsmem_tE, .Lfunc_end3-_ZN7rocprim17ROCPRIM_304000_NS6detail35device_block_merge_mergepath_kernelINS1_37wrapped_merge_sort_block_merge_configINS0_14default_configEiN2at4cuda3cub6detail10OpaqueTypeILi4EEEEEPiSC_PSA_SD_jNS1_19radix_merge_compareILb1ELb0EiNS0_19identity_decomposerEEEEEvT0_T1_T2_T3_T4_SL_jT5_PKSL_NS1_7vsmem_tE
                                        ; -- End function
	.set _ZN7rocprim17ROCPRIM_304000_NS6detail35device_block_merge_mergepath_kernelINS1_37wrapped_merge_sort_block_merge_configINS0_14default_configEiN2at4cuda3cub6detail10OpaqueTypeILi4EEEEEPiSC_PSA_SD_jNS1_19radix_merge_compareILb1ELb0EiNS0_19identity_decomposerEEEEEvT0_T1_T2_T3_T4_SL_jT5_PKSL_NS1_7vsmem_tE.num_vgpr, 21
	.set _ZN7rocprim17ROCPRIM_304000_NS6detail35device_block_merge_mergepath_kernelINS1_37wrapped_merge_sort_block_merge_configINS0_14default_configEiN2at4cuda3cub6detail10OpaqueTypeILi4EEEEEPiSC_PSA_SD_jNS1_19radix_merge_compareILb1ELb0EiNS0_19identity_decomposerEEEEEvT0_T1_T2_T3_T4_SL_jT5_PKSL_NS1_7vsmem_tE.num_agpr, 0
	.set _ZN7rocprim17ROCPRIM_304000_NS6detail35device_block_merge_mergepath_kernelINS1_37wrapped_merge_sort_block_merge_configINS0_14default_configEiN2at4cuda3cub6detail10OpaqueTypeILi4EEEEEPiSC_PSA_SD_jNS1_19radix_merge_compareILb1ELb0EiNS0_19identity_decomposerEEEEEvT0_T1_T2_T3_T4_SL_jT5_PKSL_NS1_7vsmem_tE.numbered_sgpr, 36
	.set _ZN7rocprim17ROCPRIM_304000_NS6detail35device_block_merge_mergepath_kernelINS1_37wrapped_merge_sort_block_merge_configINS0_14default_configEiN2at4cuda3cub6detail10OpaqueTypeILi4EEEEEPiSC_PSA_SD_jNS1_19radix_merge_compareILb1ELb0EiNS0_19identity_decomposerEEEEEvT0_T1_T2_T3_T4_SL_jT5_PKSL_NS1_7vsmem_tE.num_named_barrier, 0
	.set _ZN7rocprim17ROCPRIM_304000_NS6detail35device_block_merge_mergepath_kernelINS1_37wrapped_merge_sort_block_merge_configINS0_14default_configEiN2at4cuda3cub6detail10OpaqueTypeILi4EEEEEPiSC_PSA_SD_jNS1_19radix_merge_compareILb1ELb0EiNS0_19identity_decomposerEEEEEvT0_T1_T2_T3_T4_SL_jT5_PKSL_NS1_7vsmem_tE.private_seg_size, 0
	.set _ZN7rocprim17ROCPRIM_304000_NS6detail35device_block_merge_mergepath_kernelINS1_37wrapped_merge_sort_block_merge_configINS0_14default_configEiN2at4cuda3cub6detail10OpaqueTypeILi4EEEEEPiSC_PSA_SD_jNS1_19radix_merge_compareILb1ELb0EiNS0_19identity_decomposerEEEEEvT0_T1_T2_T3_T4_SL_jT5_PKSL_NS1_7vsmem_tE.uses_vcc, 1
	.set _ZN7rocprim17ROCPRIM_304000_NS6detail35device_block_merge_mergepath_kernelINS1_37wrapped_merge_sort_block_merge_configINS0_14default_configEiN2at4cuda3cub6detail10OpaqueTypeILi4EEEEEPiSC_PSA_SD_jNS1_19radix_merge_compareILb1ELb0EiNS0_19identity_decomposerEEEEEvT0_T1_T2_T3_T4_SL_jT5_PKSL_NS1_7vsmem_tE.uses_flat_scratch, 0
	.set _ZN7rocprim17ROCPRIM_304000_NS6detail35device_block_merge_mergepath_kernelINS1_37wrapped_merge_sort_block_merge_configINS0_14default_configEiN2at4cuda3cub6detail10OpaqueTypeILi4EEEEEPiSC_PSA_SD_jNS1_19radix_merge_compareILb1ELb0EiNS0_19identity_decomposerEEEEEvT0_T1_T2_T3_T4_SL_jT5_PKSL_NS1_7vsmem_tE.has_dyn_sized_stack, 0
	.set _ZN7rocprim17ROCPRIM_304000_NS6detail35device_block_merge_mergepath_kernelINS1_37wrapped_merge_sort_block_merge_configINS0_14default_configEiN2at4cuda3cub6detail10OpaqueTypeILi4EEEEEPiSC_PSA_SD_jNS1_19radix_merge_compareILb1ELb0EiNS0_19identity_decomposerEEEEEvT0_T1_T2_T3_T4_SL_jT5_PKSL_NS1_7vsmem_tE.has_recursion, 0
	.set _ZN7rocprim17ROCPRIM_304000_NS6detail35device_block_merge_mergepath_kernelINS1_37wrapped_merge_sort_block_merge_configINS0_14default_configEiN2at4cuda3cub6detail10OpaqueTypeILi4EEEEEPiSC_PSA_SD_jNS1_19radix_merge_compareILb1ELb0EiNS0_19identity_decomposerEEEEEvT0_T1_T2_T3_T4_SL_jT5_PKSL_NS1_7vsmem_tE.has_indirect_call, 0
	.section	.AMDGPU.csdata,"",@progbits
; Kernel info:
; codeLenInByte = 2976
; TotalNumSgprs: 42
; NumVgprs: 21
; NumAgprs: 0
; TotalNumVgprs: 21
; ScratchSize: 0
; MemoryBound: 0
; FloatMode: 240
; IeeeMode: 1
; LDSByteSize: 4224 bytes/workgroup (compile time only)
; SGPRBlocks: 5
; VGPRBlocks: 2
; NumSGPRsForWavesPerEU: 42
; NumVGPRsForWavesPerEU: 21
; AccumOffset: 24
; Occupancy: 8
; WaveLimiterHint : 1
; COMPUTE_PGM_RSRC2:SCRATCH_EN: 0
; COMPUTE_PGM_RSRC2:USER_SGPR: 2
; COMPUTE_PGM_RSRC2:TRAP_HANDLER: 0
; COMPUTE_PGM_RSRC2:TGID_X_EN: 1
; COMPUTE_PGM_RSRC2:TGID_Y_EN: 1
; COMPUTE_PGM_RSRC2:TGID_Z_EN: 1
; COMPUTE_PGM_RSRC2:TIDIG_COMP_CNT: 0
; COMPUTE_PGM_RSRC3_GFX90A:ACCUM_OFFSET: 5
; COMPUTE_PGM_RSRC3_GFX90A:TG_SPLIT: 0
	.section	.text._ZN7rocprim17ROCPRIM_304000_NS6detail33device_block_merge_oddeven_kernelINS1_37wrapped_merge_sort_block_merge_configINS0_14default_configEiN2at4cuda3cub6detail10OpaqueTypeILi4EEEEEPiSC_PSA_SD_jNS1_19radix_merge_compareILb1ELb0EiNS0_19identity_decomposerEEEEEvT0_T1_T2_T3_T4_SL_T5_,"axG",@progbits,_ZN7rocprim17ROCPRIM_304000_NS6detail33device_block_merge_oddeven_kernelINS1_37wrapped_merge_sort_block_merge_configINS0_14default_configEiN2at4cuda3cub6detail10OpaqueTypeILi4EEEEEPiSC_PSA_SD_jNS1_19radix_merge_compareILb1ELb0EiNS0_19identity_decomposerEEEEEvT0_T1_T2_T3_T4_SL_T5_,comdat
	.protected	_ZN7rocprim17ROCPRIM_304000_NS6detail33device_block_merge_oddeven_kernelINS1_37wrapped_merge_sort_block_merge_configINS0_14default_configEiN2at4cuda3cub6detail10OpaqueTypeILi4EEEEEPiSC_PSA_SD_jNS1_19radix_merge_compareILb1ELb0EiNS0_19identity_decomposerEEEEEvT0_T1_T2_T3_T4_SL_T5_ ; -- Begin function _ZN7rocprim17ROCPRIM_304000_NS6detail33device_block_merge_oddeven_kernelINS1_37wrapped_merge_sort_block_merge_configINS0_14default_configEiN2at4cuda3cub6detail10OpaqueTypeILi4EEEEEPiSC_PSA_SD_jNS1_19radix_merge_compareILb1ELb0EiNS0_19identity_decomposerEEEEEvT0_T1_T2_T3_T4_SL_T5_
	.globl	_ZN7rocprim17ROCPRIM_304000_NS6detail33device_block_merge_oddeven_kernelINS1_37wrapped_merge_sort_block_merge_configINS0_14default_configEiN2at4cuda3cub6detail10OpaqueTypeILi4EEEEEPiSC_PSA_SD_jNS1_19radix_merge_compareILb1ELb0EiNS0_19identity_decomposerEEEEEvT0_T1_T2_T3_T4_SL_T5_
	.p2align	8
	.type	_ZN7rocprim17ROCPRIM_304000_NS6detail33device_block_merge_oddeven_kernelINS1_37wrapped_merge_sort_block_merge_configINS0_14default_configEiN2at4cuda3cub6detail10OpaqueTypeILi4EEEEEPiSC_PSA_SD_jNS1_19radix_merge_compareILb1ELb0EiNS0_19identity_decomposerEEEEEvT0_T1_T2_T3_T4_SL_T5_,@function
_ZN7rocprim17ROCPRIM_304000_NS6detail33device_block_merge_oddeven_kernelINS1_37wrapped_merge_sort_block_merge_configINS0_14default_configEiN2at4cuda3cub6detail10OpaqueTypeILi4EEEEEPiSC_PSA_SD_jNS1_19radix_merge_compareILb1ELb0EiNS0_19identity_decomposerEEEEEvT0_T1_T2_T3_T4_SL_T5_: ; @_ZN7rocprim17ROCPRIM_304000_NS6detail33device_block_merge_oddeven_kernelINS1_37wrapped_merge_sort_block_merge_configINS0_14default_configEiN2at4cuda3cub6detail10OpaqueTypeILi4EEEEEPiSC_PSA_SD_jNS1_19radix_merge_compareILb1ELb0EiNS0_19identity_decomposerEEEEEvT0_T1_T2_T3_T4_SL_T5_
; %bb.0:
	s_load_dwordx2 s[16:17], s[0:1], 0x20
	s_waitcnt lgkmcnt(0)
	s_lshr_b32 s3, s16, 8
	s_cmp_eq_u32 s2, s3
	s_cselect_b64 s[6:7], -1, 0
	s_cmp_lg_u32 s2, s3
	s_cselect_b64 s[8:9], -1, 0
	s_lshl_b32 s18, s2, 8
	s_sub_i32 s3, s16, s18
	v_cmp_gt_u32_e64 s[4:5], s3, v0
	s_or_b64 s[8:9], s[8:9], s[4:5]
	s_and_saveexec_b64 s[10:11], s[8:9]
	s_cbranch_execz .LBB4_24
; %bb.1:
	s_load_dwordx8 s[8:15], s[0:1], 0x0
	s_mov_b32 s19, 0
	s_lshl_b64 s[0:1], s[18:19], 2
	v_lshlrev_b32_e32 v1, 2, v0
	v_add_u32_e32 v0, s18, v0
	s_waitcnt lgkmcnt(0)
	s_add_u32 s20, s8, s0
	s_addc_u32 s21, s9, s1
	s_add_u32 s0, s12, s0
	s_addc_u32 s1, s13, s1
	global_load_dword v2, v1, s[0:1]
	global_load_dword v3, v1, s[20:21]
	s_lshr_b32 s0, s17, 8
	s_sub_i32 s1, 0, s0
	s_and_b32 s1, s2, s1
	s_and_b32 s0, s1, s0
	s_lshl_b32 s19, s1, 8
	s_sub_i32 s12, 0, s17
	s_cmp_eq_u32 s0, 0
	s_cselect_b64 s[0:1], -1, 0
	s_and_b64 s[2:3], s[0:1], exec
	s_cselect_b32 s12, s17, s12
	s_add_i32 s12, s12, s19
	s_mov_b64 s[2:3], -1
	s_cmp_gt_u32 s16, s12
	s_cbranch_scc1 .LBB4_9
; %bb.2:
	s_and_b64 vcc, exec, s[6:7]
	s_cbranch_vccz .LBB4_6
; %bb.3:
	v_cmp_gt_u32_e32 vcc, s16, v0
	s_and_saveexec_b64 s[2:3], vcc
	s_cbranch_execz .LBB4_5
; %bb.4:
	v_mov_b32_e32 v1, 0
	v_lshlrev_b64 v[4:5], 2, v[0:1]
	v_lshl_add_u64 v[6:7], s[14:15], 0, v[4:5]
	v_lshl_add_u64 v[4:5], s[10:11], 0, v[4:5]
	s_waitcnt vmcnt(0)
	global_store_dword v[4:5], v3, off
	global_store_dword v[6:7], v2, off
.LBB4_5:
	s_or_b64 exec, exec, s[2:3]
	s_mov_b64 s[2:3], 0
.LBB4_6:
	s_andn2_b64 vcc, exec, s[2:3]
	s_cbranch_vccnz .LBB4_8
; %bb.7:
	v_mov_b32_e32 v1, 0
	v_lshlrev_b64 v[4:5], 2, v[0:1]
	v_lshl_add_u64 v[6:7], s[10:11], 0, v[4:5]
	v_lshl_add_u64 v[4:5], s[14:15], 0, v[4:5]
	s_waitcnt vmcnt(0)
	global_store_dword v[6:7], v3, off
	global_store_dword v[4:5], v2, off
.LBB4_8:
	s_mov_b64 s[2:3], 0
.LBB4_9:
	s_andn2_b64 vcc, exec, s[2:3]
	s_cbranch_vccnz .LBB4_24
; %bb.10:
	s_min_u32 s13, s12, s16
	s_add_i32 s2, s13, s17
	s_min_u32 s16, s2, s16
	s_min_u32 s2, s19, s13
	s_add_i32 s19, s19, s13
	v_subrev_u32_e32 v0, s19, v0
	v_add_u32_e32 v4, s2, v0
	s_andn2_b64 vcc, exec, s[6:7]
	s_mov_b64 s[2:3], -1
	s_cbranch_vccnz .LBB4_18
; %bb.11:
	s_and_saveexec_b64 s[2:3], s[4:5]
	s_cbranch_execz .LBB4_17
; %bb.12:
	s_cmp_ge_u32 s12, s16
	v_mov_b32_e32 v5, s13
	s_cbranch_scc1 .LBB4_16
; %bb.13:
	s_mov_b64 s[4:5], 0
	v_mov_b32_e32 v6, s16
	v_mov_b32_e32 v5, s13
	;; [unrolled: 1-line block ×3, first 2 shown]
.LBB4_14:                               ; =>This Inner Loop Header: Depth=1
	v_add_u32_e32 v0, v5, v6
	v_lshrrev_b32_e32 v0, 1, v0
	v_lshl_add_u64 v[8:9], v[0:1], 2, s[8:9]
	global_load_dword v7, v[8:9], off
	v_add_u32_e32 v8, 1, v0
	s_waitcnt vmcnt(0)
	v_cmp_gt_i32_e32 vcc, v7, v3
	s_nop 1
	v_cndmask_b32_e64 v9, 0, 1, vcc
	v_cmp_le_i32_e32 vcc, v3, v7
	s_nop 1
	v_cndmask_b32_e64 v7, 0, 1, vcc
	v_cndmask_b32_e64 v7, v7, v9, s[0:1]
	v_and_b32_e32 v7, 1, v7
	v_cmp_eq_u32_e32 vcc, 1, v7
	s_nop 1
	v_cndmask_b32_e32 v6, v0, v6, vcc
	v_cndmask_b32_e32 v5, v5, v8, vcc
	v_cmp_ge_u32_e32 vcc, v5, v6
	s_or_b64 s[4:5], vcc, s[4:5]
	s_andn2_b64 exec, exec, s[4:5]
	s_cbranch_execnz .LBB4_14
; %bb.15:
	s_or_b64 exec, exec, s[4:5]
.LBB4_16:
	v_add_u32_e32 v0, v5, v4
	v_mov_b32_e32 v1, 0
	v_lshlrev_b64 v[0:1], 2, v[0:1]
	v_lshl_add_u64 v[6:7], s[10:11], 0, v[0:1]
	v_lshl_add_u64 v[0:1], s[14:15], 0, v[0:1]
	s_waitcnt vmcnt(0)
	global_store_dword v[6:7], v3, off
	global_store_dword v[0:1], v2, off
.LBB4_17:
	s_or_b64 exec, exec, s[2:3]
	s_mov_b64 s[2:3], 0
.LBB4_18:
	s_andn2_b64 vcc, exec, s[2:3]
	s_cbranch_vccnz .LBB4_24
; %bb.19:
	s_cmp_ge_u32 s12, s16
	v_mov_b32_e32 v5, s13
	s_cbranch_scc1 .LBB4_23
; %bb.20:
	s_mov_b64 s[2:3], 0
	v_mov_b32_e32 v6, s16
	v_mov_b32_e32 v5, s13
	;; [unrolled: 1-line block ×3, first 2 shown]
.LBB4_21:                               ; =>This Inner Loop Header: Depth=1
	v_add_u32_e32 v0, v5, v6
	v_lshrrev_b32_e32 v0, 1, v0
	v_lshl_add_u64 v[8:9], v[0:1], 2, s[8:9]
	global_load_dword v7, v[8:9], off
	v_add_u32_e32 v8, 1, v0
	s_waitcnt vmcnt(0)
	v_cmp_gt_i32_e32 vcc, v7, v3
	s_nop 1
	v_cndmask_b32_e64 v9, 0, 1, vcc
	v_cmp_le_i32_e32 vcc, v3, v7
	s_nop 1
	v_cndmask_b32_e64 v7, 0, 1, vcc
	v_cndmask_b32_e64 v7, v7, v9, s[0:1]
	v_and_b32_e32 v7, 1, v7
	v_cmp_eq_u32_e32 vcc, 1, v7
	s_nop 1
	v_cndmask_b32_e32 v6, v0, v6, vcc
	v_cndmask_b32_e32 v5, v5, v8, vcc
	v_cmp_ge_u32_e32 vcc, v5, v6
	s_or_b64 s[2:3], vcc, s[2:3]
	s_andn2_b64 exec, exec, s[2:3]
	s_cbranch_execnz .LBB4_21
; %bb.22:
	s_or_b64 exec, exec, s[2:3]
.LBB4_23:
	v_add_u32_e32 v0, v5, v4
	v_mov_b32_e32 v1, 0
	v_lshlrev_b64 v[0:1], 2, v[0:1]
	v_lshl_add_u64 v[4:5], s[10:11], 0, v[0:1]
	v_lshl_add_u64 v[0:1], s[14:15], 0, v[0:1]
	s_waitcnt vmcnt(0)
	global_store_dword v[4:5], v3, off
	global_store_dword v[0:1], v2, off
.LBB4_24:
	s_endpgm
	.section	.rodata,"a",@progbits
	.p2align	6, 0x0
	.amdhsa_kernel _ZN7rocprim17ROCPRIM_304000_NS6detail33device_block_merge_oddeven_kernelINS1_37wrapped_merge_sort_block_merge_configINS0_14default_configEiN2at4cuda3cub6detail10OpaqueTypeILi4EEEEEPiSC_PSA_SD_jNS1_19radix_merge_compareILb1ELb0EiNS0_19identity_decomposerEEEEEvT0_T1_T2_T3_T4_SL_T5_
		.amdhsa_group_segment_fixed_size 0
		.amdhsa_private_segment_fixed_size 0
		.amdhsa_kernarg_size 44
		.amdhsa_user_sgpr_count 2
		.amdhsa_user_sgpr_dispatch_ptr 0
		.amdhsa_user_sgpr_queue_ptr 0
		.amdhsa_user_sgpr_kernarg_segment_ptr 1
		.amdhsa_user_sgpr_dispatch_id 0
		.amdhsa_user_sgpr_kernarg_preload_length 0
		.amdhsa_user_sgpr_kernarg_preload_offset 0
		.amdhsa_user_sgpr_private_segment_size 0
		.amdhsa_uses_dynamic_stack 0
		.amdhsa_enable_private_segment 0
		.amdhsa_system_sgpr_workgroup_id_x 1
		.amdhsa_system_sgpr_workgroup_id_y 0
		.amdhsa_system_sgpr_workgroup_id_z 0
		.amdhsa_system_sgpr_workgroup_info 0
		.amdhsa_system_vgpr_workitem_id 0
		.amdhsa_next_free_vgpr 10
		.amdhsa_next_free_sgpr 22
		.amdhsa_accum_offset 12
		.amdhsa_reserve_vcc 1
		.amdhsa_float_round_mode_32 0
		.amdhsa_float_round_mode_16_64 0
		.amdhsa_float_denorm_mode_32 3
		.amdhsa_float_denorm_mode_16_64 3
		.amdhsa_dx10_clamp 1
		.amdhsa_ieee_mode 1
		.amdhsa_fp16_overflow 0
		.amdhsa_tg_split 0
		.amdhsa_exception_fp_ieee_invalid_op 0
		.amdhsa_exception_fp_denorm_src 0
		.amdhsa_exception_fp_ieee_div_zero 0
		.amdhsa_exception_fp_ieee_overflow 0
		.amdhsa_exception_fp_ieee_underflow 0
		.amdhsa_exception_fp_ieee_inexact 0
		.amdhsa_exception_int_div_zero 0
	.end_amdhsa_kernel
	.section	.text._ZN7rocprim17ROCPRIM_304000_NS6detail33device_block_merge_oddeven_kernelINS1_37wrapped_merge_sort_block_merge_configINS0_14default_configEiN2at4cuda3cub6detail10OpaqueTypeILi4EEEEEPiSC_PSA_SD_jNS1_19radix_merge_compareILb1ELb0EiNS0_19identity_decomposerEEEEEvT0_T1_T2_T3_T4_SL_T5_,"axG",@progbits,_ZN7rocprim17ROCPRIM_304000_NS6detail33device_block_merge_oddeven_kernelINS1_37wrapped_merge_sort_block_merge_configINS0_14default_configEiN2at4cuda3cub6detail10OpaqueTypeILi4EEEEEPiSC_PSA_SD_jNS1_19radix_merge_compareILb1ELb0EiNS0_19identity_decomposerEEEEEvT0_T1_T2_T3_T4_SL_T5_,comdat
.Lfunc_end4:
	.size	_ZN7rocprim17ROCPRIM_304000_NS6detail33device_block_merge_oddeven_kernelINS1_37wrapped_merge_sort_block_merge_configINS0_14default_configEiN2at4cuda3cub6detail10OpaqueTypeILi4EEEEEPiSC_PSA_SD_jNS1_19radix_merge_compareILb1ELb0EiNS0_19identity_decomposerEEEEEvT0_T1_T2_T3_T4_SL_T5_, .Lfunc_end4-_ZN7rocprim17ROCPRIM_304000_NS6detail33device_block_merge_oddeven_kernelINS1_37wrapped_merge_sort_block_merge_configINS0_14default_configEiN2at4cuda3cub6detail10OpaqueTypeILi4EEEEEPiSC_PSA_SD_jNS1_19radix_merge_compareILb1ELb0EiNS0_19identity_decomposerEEEEEvT0_T1_T2_T3_T4_SL_T5_
                                        ; -- End function
	.set _ZN7rocprim17ROCPRIM_304000_NS6detail33device_block_merge_oddeven_kernelINS1_37wrapped_merge_sort_block_merge_configINS0_14default_configEiN2at4cuda3cub6detail10OpaqueTypeILi4EEEEEPiSC_PSA_SD_jNS1_19radix_merge_compareILb1ELb0EiNS0_19identity_decomposerEEEEEvT0_T1_T2_T3_T4_SL_T5_.num_vgpr, 10
	.set _ZN7rocprim17ROCPRIM_304000_NS6detail33device_block_merge_oddeven_kernelINS1_37wrapped_merge_sort_block_merge_configINS0_14default_configEiN2at4cuda3cub6detail10OpaqueTypeILi4EEEEEPiSC_PSA_SD_jNS1_19radix_merge_compareILb1ELb0EiNS0_19identity_decomposerEEEEEvT0_T1_T2_T3_T4_SL_T5_.num_agpr, 0
	.set _ZN7rocprim17ROCPRIM_304000_NS6detail33device_block_merge_oddeven_kernelINS1_37wrapped_merge_sort_block_merge_configINS0_14default_configEiN2at4cuda3cub6detail10OpaqueTypeILi4EEEEEPiSC_PSA_SD_jNS1_19radix_merge_compareILb1ELb0EiNS0_19identity_decomposerEEEEEvT0_T1_T2_T3_T4_SL_T5_.numbered_sgpr, 22
	.set _ZN7rocprim17ROCPRIM_304000_NS6detail33device_block_merge_oddeven_kernelINS1_37wrapped_merge_sort_block_merge_configINS0_14default_configEiN2at4cuda3cub6detail10OpaqueTypeILi4EEEEEPiSC_PSA_SD_jNS1_19radix_merge_compareILb1ELb0EiNS0_19identity_decomposerEEEEEvT0_T1_T2_T3_T4_SL_T5_.num_named_barrier, 0
	.set _ZN7rocprim17ROCPRIM_304000_NS6detail33device_block_merge_oddeven_kernelINS1_37wrapped_merge_sort_block_merge_configINS0_14default_configEiN2at4cuda3cub6detail10OpaqueTypeILi4EEEEEPiSC_PSA_SD_jNS1_19radix_merge_compareILb1ELb0EiNS0_19identity_decomposerEEEEEvT0_T1_T2_T3_T4_SL_T5_.private_seg_size, 0
	.set _ZN7rocprim17ROCPRIM_304000_NS6detail33device_block_merge_oddeven_kernelINS1_37wrapped_merge_sort_block_merge_configINS0_14default_configEiN2at4cuda3cub6detail10OpaqueTypeILi4EEEEEPiSC_PSA_SD_jNS1_19radix_merge_compareILb1ELb0EiNS0_19identity_decomposerEEEEEvT0_T1_T2_T3_T4_SL_T5_.uses_vcc, 1
	.set _ZN7rocprim17ROCPRIM_304000_NS6detail33device_block_merge_oddeven_kernelINS1_37wrapped_merge_sort_block_merge_configINS0_14default_configEiN2at4cuda3cub6detail10OpaqueTypeILi4EEEEEPiSC_PSA_SD_jNS1_19radix_merge_compareILb1ELb0EiNS0_19identity_decomposerEEEEEvT0_T1_T2_T3_T4_SL_T5_.uses_flat_scratch, 0
	.set _ZN7rocprim17ROCPRIM_304000_NS6detail33device_block_merge_oddeven_kernelINS1_37wrapped_merge_sort_block_merge_configINS0_14default_configEiN2at4cuda3cub6detail10OpaqueTypeILi4EEEEEPiSC_PSA_SD_jNS1_19radix_merge_compareILb1ELb0EiNS0_19identity_decomposerEEEEEvT0_T1_T2_T3_T4_SL_T5_.has_dyn_sized_stack, 0
	.set _ZN7rocprim17ROCPRIM_304000_NS6detail33device_block_merge_oddeven_kernelINS1_37wrapped_merge_sort_block_merge_configINS0_14default_configEiN2at4cuda3cub6detail10OpaqueTypeILi4EEEEEPiSC_PSA_SD_jNS1_19radix_merge_compareILb1ELb0EiNS0_19identity_decomposerEEEEEvT0_T1_T2_T3_T4_SL_T5_.has_recursion, 0
	.set _ZN7rocprim17ROCPRIM_304000_NS6detail33device_block_merge_oddeven_kernelINS1_37wrapped_merge_sort_block_merge_configINS0_14default_configEiN2at4cuda3cub6detail10OpaqueTypeILi4EEEEEPiSC_PSA_SD_jNS1_19radix_merge_compareILb1ELb0EiNS0_19identity_decomposerEEEEEvT0_T1_T2_T3_T4_SL_T5_.has_indirect_call, 0
	.section	.AMDGPU.csdata,"",@progbits
; Kernel info:
; codeLenInByte = 772
; TotalNumSgprs: 28
; NumVgprs: 10
; NumAgprs: 0
; TotalNumVgprs: 10
; ScratchSize: 0
; MemoryBound: 0
; FloatMode: 240
; IeeeMode: 1
; LDSByteSize: 0 bytes/workgroup (compile time only)
; SGPRBlocks: 3
; VGPRBlocks: 1
; NumSGPRsForWavesPerEU: 28
; NumVGPRsForWavesPerEU: 10
; AccumOffset: 12
; Occupancy: 8
; WaveLimiterHint : 0
; COMPUTE_PGM_RSRC2:SCRATCH_EN: 0
; COMPUTE_PGM_RSRC2:USER_SGPR: 2
; COMPUTE_PGM_RSRC2:TRAP_HANDLER: 0
; COMPUTE_PGM_RSRC2:TGID_X_EN: 1
; COMPUTE_PGM_RSRC2:TGID_Y_EN: 0
; COMPUTE_PGM_RSRC2:TGID_Z_EN: 0
; COMPUTE_PGM_RSRC2:TIDIG_COMP_CNT: 0
; COMPUTE_PGM_RSRC3_GFX90A:ACCUM_OFFSET: 2
; COMPUTE_PGM_RSRC3_GFX90A:TG_SPLIT: 0
	.section	.text._ZN7rocprim17ROCPRIM_304000_NS6detail16transform_kernelINS1_24wrapped_transform_configINS0_14default_configEiEEiPiS6_NS0_8identityIiEEEEvT1_mT2_T3_,"axG",@progbits,_ZN7rocprim17ROCPRIM_304000_NS6detail16transform_kernelINS1_24wrapped_transform_configINS0_14default_configEiEEiPiS6_NS0_8identityIiEEEEvT1_mT2_T3_,comdat
	.protected	_ZN7rocprim17ROCPRIM_304000_NS6detail16transform_kernelINS1_24wrapped_transform_configINS0_14default_configEiEEiPiS6_NS0_8identityIiEEEEvT1_mT2_T3_ ; -- Begin function _ZN7rocprim17ROCPRIM_304000_NS6detail16transform_kernelINS1_24wrapped_transform_configINS0_14default_configEiEEiPiS6_NS0_8identityIiEEEEvT1_mT2_T3_
	.globl	_ZN7rocprim17ROCPRIM_304000_NS6detail16transform_kernelINS1_24wrapped_transform_configINS0_14default_configEiEEiPiS6_NS0_8identityIiEEEEvT1_mT2_T3_
	.p2align	8
	.type	_ZN7rocprim17ROCPRIM_304000_NS6detail16transform_kernelINS1_24wrapped_transform_configINS0_14default_configEiEEiPiS6_NS0_8identityIiEEEEvT1_mT2_T3_,@function
_ZN7rocprim17ROCPRIM_304000_NS6detail16transform_kernelINS1_24wrapped_transform_configINS0_14default_configEiEEiPiS6_NS0_8identityIiEEEEvT1_mT2_T3_: ; @_ZN7rocprim17ROCPRIM_304000_NS6detail16transform_kernelINS1_24wrapped_transform_configINS0_14default_configEiEEiPiS6_NS0_8identityIiEEEEvT1_mT2_T3_
; %bb.0:
	s_load_dword s3, s[0:1], 0x20
	s_load_dwordx4 s[4:7], s[0:1], 0x0
	s_load_dwordx2 s[8:9], s[0:1], 0x10
	s_lshl_b32 s0, s2, 8
	s_mov_b32 s1, 0
	s_waitcnt lgkmcnt(0)
	s_add_i32 s3, s3, -1
	s_lshl_b64 s[10:11], s[0:1], 2
	s_add_u32 s4, s4, s10
	s_addc_u32 s5, s5, s11
	v_mov_b32_e32 v3, 0
	v_lshlrev_b32_e32 v2, 2, v0
	s_cmp_lg_u32 s2, s3
	v_lshl_add_u64 v[4:5], s[4:5], 0, v[2:3]
	s_cbranch_scc0 .LBB5_2
; %bb.1:
	global_load_dword v3, v[4:5], off
	global_load_dword v1, v[4:5], off offset:512
	s_add_u32 s2, s8, s10
	s_addc_u32 s3, s9, s11
	s_waitcnt vmcnt(1)
	global_store_dword v2, v3, s[2:3]
	s_mov_b64 s[2:3], -1
	s_cbranch_execz .LBB5_3
	s_branch .LBB5_10
.LBB5_2:
	s_mov_b64 s[2:3], 0
                                        ; implicit-def: $vgpr1
.LBB5_3:
	s_sub_i32 s4, s6, s0
	v_mov_b32_e32 v6, 0
	v_cmp_gt_u32_e32 vcc, s4, v0
	v_mov_b32_e32 v7, v6
	s_and_saveexec_b64 s[0:1], vcc
	s_cbranch_execz .LBB5_5
; %bb.4:
	global_load_dword v8, v[4:5], off
	v_mov_b32_e32 v9, v6
	s_waitcnt vmcnt(0)
	v_mov_b64_e32 v[6:7], v[8:9]
.LBB5_5:
	s_or_b64 exec, exec, s[0:1]
	v_or_b32_e32 v0, 0x80, v0
	v_cmp_gt_u32_e64 s[0:1], s4, v0
	s_and_saveexec_b64 s[4:5], s[0:1]
	s_cbranch_execnz .LBB5_13
; %bb.6:
	s_or_b64 exec, exec, s[4:5]
	v_cndmask_b32_e32 v0, 0, v6, vcc
	s_and_saveexec_b64 s[4:5], vcc
	s_cbranch_execnz .LBB5_14
.LBB5_7:
	s_or_b64 exec, exec, s[4:5]
                                        ; implicit-def: $vgpr1
	s_and_saveexec_b64 s[4:5], s[0:1]
	s_cbranch_execz .LBB5_9
.LBB5_8:
	s_waitcnt vmcnt(0)
	v_cndmask_b32_e64 v1, 0, v7, s[0:1]
	s_or_b64 s[2:3], s[2:3], exec
.LBB5_9:
	s_or_b64 exec, exec, s[4:5]
.LBB5_10:
	s_and_saveexec_b64 s[0:1], s[2:3]
	s_cbranch_execnz .LBB5_12
; %bb.11:
	s_endpgm
.LBB5_12:
	s_add_u32 s0, s8, s10
	s_addc_u32 s1, s9, s11
	s_waitcnt vmcnt(1)
	global_store_dword v2, v1, s[0:1] offset:512
	s_endpgm
.LBB5_13:
	global_load_dword v7, v[4:5], off offset:512
	s_or_b64 exec, exec, s[4:5]
	v_cndmask_b32_e32 v0, 0, v6, vcc
	s_and_saveexec_b64 s[4:5], vcc
	s_cbranch_execz .LBB5_7
.LBB5_14:
	s_add_u32 s6, s8, s10
	s_addc_u32 s7, s9, s11
	global_store_dword v2, v0, s[6:7]
	s_or_b64 exec, exec, s[4:5]
                                        ; implicit-def: $vgpr1
	s_and_saveexec_b64 s[4:5], s[0:1]
	s_cbranch_execnz .LBB5_8
	s_branch .LBB5_9
	.section	.rodata,"a",@progbits
	.p2align	6, 0x0
	.amdhsa_kernel _ZN7rocprim17ROCPRIM_304000_NS6detail16transform_kernelINS1_24wrapped_transform_configINS0_14default_configEiEEiPiS6_NS0_8identityIiEEEEvT1_mT2_T3_
		.amdhsa_group_segment_fixed_size 0
		.amdhsa_private_segment_fixed_size 0
		.amdhsa_kernarg_size 288
		.amdhsa_user_sgpr_count 2
		.amdhsa_user_sgpr_dispatch_ptr 0
		.amdhsa_user_sgpr_queue_ptr 0
		.amdhsa_user_sgpr_kernarg_segment_ptr 1
		.amdhsa_user_sgpr_dispatch_id 0
		.amdhsa_user_sgpr_kernarg_preload_length 0
		.amdhsa_user_sgpr_kernarg_preload_offset 0
		.amdhsa_user_sgpr_private_segment_size 0
		.amdhsa_uses_dynamic_stack 0
		.amdhsa_enable_private_segment 0
		.amdhsa_system_sgpr_workgroup_id_x 1
		.amdhsa_system_sgpr_workgroup_id_y 0
		.amdhsa_system_sgpr_workgroup_id_z 0
		.amdhsa_system_sgpr_workgroup_info 0
		.amdhsa_system_vgpr_workitem_id 0
		.amdhsa_next_free_vgpr 10
		.amdhsa_next_free_sgpr 12
		.amdhsa_accum_offset 12
		.amdhsa_reserve_vcc 1
		.amdhsa_float_round_mode_32 0
		.amdhsa_float_round_mode_16_64 0
		.amdhsa_float_denorm_mode_32 3
		.amdhsa_float_denorm_mode_16_64 3
		.amdhsa_dx10_clamp 1
		.amdhsa_ieee_mode 1
		.amdhsa_fp16_overflow 0
		.amdhsa_tg_split 0
		.amdhsa_exception_fp_ieee_invalid_op 0
		.amdhsa_exception_fp_denorm_src 0
		.amdhsa_exception_fp_ieee_div_zero 0
		.amdhsa_exception_fp_ieee_overflow 0
		.amdhsa_exception_fp_ieee_underflow 0
		.amdhsa_exception_fp_ieee_inexact 0
		.amdhsa_exception_int_div_zero 0
	.end_amdhsa_kernel
	.section	.text._ZN7rocprim17ROCPRIM_304000_NS6detail16transform_kernelINS1_24wrapped_transform_configINS0_14default_configEiEEiPiS6_NS0_8identityIiEEEEvT1_mT2_T3_,"axG",@progbits,_ZN7rocprim17ROCPRIM_304000_NS6detail16transform_kernelINS1_24wrapped_transform_configINS0_14default_configEiEEiPiS6_NS0_8identityIiEEEEvT1_mT2_T3_,comdat
.Lfunc_end5:
	.size	_ZN7rocprim17ROCPRIM_304000_NS6detail16transform_kernelINS1_24wrapped_transform_configINS0_14default_configEiEEiPiS6_NS0_8identityIiEEEEvT1_mT2_T3_, .Lfunc_end5-_ZN7rocprim17ROCPRIM_304000_NS6detail16transform_kernelINS1_24wrapped_transform_configINS0_14default_configEiEEiPiS6_NS0_8identityIiEEEEvT1_mT2_T3_
                                        ; -- End function
	.set _ZN7rocprim17ROCPRIM_304000_NS6detail16transform_kernelINS1_24wrapped_transform_configINS0_14default_configEiEEiPiS6_NS0_8identityIiEEEEvT1_mT2_T3_.num_vgpr, 10
	.set _ZN7rocprim17ROCPRIM_304000_NS6detail16transform_kernelINS1_24wrapped_transform_configINS0_14default_configEiEEiPiS6_NS0_8identityIiEEEEvT1_mT2_T3_.num_agpr, 0
	.set _ZN7rocprim17ROCPRIM_304000_NS6detail16transform_kernelINS1_24wrapped_transform_configINS0_14default_configEiEEiPiS6_NS0_8identityIiEEEEvT1_mT2_T3_.numbered_sgpr, 12
	.set _ZN7rocprim17ROCPRIM_304000_NS6detail16transform_kernelINS1_24wrapped_transform_configINS0_14default_configEiEEiPiS6_NS0_8identityIiEEEEvT1_mT2_T3_.num_named_barrier, 0
	.set _ZN7rocprim17ROCPRIM_304000_NS6detail16transform_kernelINS1_24wrapped_transform_configINS0_14default_configEiEEiPiS6_NS0_8identityIiEEEEvT1_mT2_T3_.private_seg_size, 0
	.set _ZN7rocprim17ROCPRIM_304000_NS6detail16transform_kernelINS1_24wrapped_transform_configINS0_14default_configEiEEiPiS6_NS0_8identityIiEEEEvT1_mT2_T3_.uses_vcc, 1
	.set _ZN7rocprim17ROCPRIM_304000_NS6detail16transform_kernelINS1_24wrapped_transform_configINS0_14default_configEiEEiPiS6_NS0_8identityIiEEEEvT1_mT2_T3_.uses_flat_scratch, 0
	.set _ZN7rocprim17ROCPRIM_304000_NS6detail16transform_kernelINS1_24wrapped_transform_configINS0_14default_configEiEEiPiS6_NS0_8identityIiEEEEvT1_mT2_T3_.has_dyn_sized_stack, 0
	.set _ZN7rocprim17ROCPRIM_304000_NS6detail16transform_kernelINS1_24wrapped_transform_configINS0_14default_configEiEEiPiS6_NS0_8identityIiEEEEvT1_mT2_T3_.has_recursion, 0
	.set _ZN7rocprim17ROCPRIM_304000_NS6detail16transform_kernelINS1_24wrapped_transform_configINS0_14default_configEiEEiPiS6_NS0_8identityIiEEEEvT1_mT2_T3_.has_indirect_call, 0
	.section	.AMDGPU.csdata,"",@progbits
; Kernel info:
; codeLenInByte = 340
; TotalNumSgprs: 18
; NumVgprs: 10
; NumAgprs: 0
; TotalNumVgprs: 10
; ScratchSize: 0
; MemoryBound: 0
; FloatMode: 240
; IeeeMode: 1
; LDSByteSize: 0 bytes/workgroup (compile time only)
; SGPRBlocks: 2
; VGPRBlocks: 1
; NumSGPRsForWavesPerEU: 18
; NumVGPRsForWavesPerEU: 10
; AccumOffset: 12
; Occupancy: 8
; WaveLimiterHint : 1
; COMPUTE_PGM_RSRC2:SCRATCH_EN: 0
; COMPUTE_PGM_RSRC2:USER_SGPR: 2
; COMPUTE_PGM_RSRC2:TRAP_HANDLER: 0
; COMPUTE_PGM_RSRC2:TGID_X_EN: 1
; COMPUTE_PGM_RSRC2:TGID_Y_EN: 0
; COMPUTE_PGM_RSRC2:TGID_Z_EN: 0
; COMPUTE_PGM_RSRC2:TIDIG_COMP_CNT: 0
; COMPUTE_PGM_RSRC3_GFX90A:ACCUM_OFFSET: 2
; COMPUTE_PGM_RSRC3_GFX90A:TG_SPLIT: 0
	.section	.text._ZN7rocprim17ROCPRIM_304000_NS6detail16transform_kernelINS1_24wrapped_transform_configINS0_14default_configEN2at4cuda3cub6detail10OpaqueTypeILi4EEEEESA_PSA_SC_NS0_8identityISA_EEEEvT1_mT2_T3_,"axG",@progbits,_ZN7rocprim17ROCPRIM_304000_NS6detail16transform_kernelINS1_24wrapped_transform_configINS0_14default_configEN2at4cuda3cub6detail10OpaqueTypeILi4EEEEESA_PSA_SC_NS0_8identityISA_EEEEvT1_mT2_T3_,comdat
	.protected	_ZN7rocprim17ROCPRIM_304000_NS6detail16transform_kernelINS1_24wrapped_transform_configINS0_14default_configEN2at4cuda3cub6detail10OpaqueTypeILi4EEEEESA_PSA_SC_NS0_8identityISA_EEEEvT1_mT2_T3_ ; -- Begin function _ZN7rocprim17ROCPRIM_304000_NS6detail16transform_kernelINS1_24wrapped_transform_configINS0_14default_configEN2at4cuda3cub6detail10OpaqueTypeILi4EEEEESA_PSA_SC_NS0_8identityISA_EEEEvT1_mT2_T3_
	.globl	_ZN7rocprim17ROCPRIM_304000_NS6detail16transform_kernelINS1_24wrapped_transform_configINS0_14default_configEN2at4cuda3cub6detail10OpaqueTypeILi4EEEEESA_PSA_SC_NS0_8identityISA_EEEEvT1_mT2_T3_
	.p2align	8
	.type	_ZN7rocprim17ROCPRIM_304000_NS6detail16transform_kernelINS1_24wrapped_transform_configINS0_14default_configEN2at4cuda3cub6detail10OpaqueTypeILi4EEEEESA_PSA_SC_NS0_8identityISA_EEEEvT1_mT2_T3_,@function
_ZN7rocprim17ROCPRIM_304000_NS6detail16transform_kernelINS1_24wrapped_transform_configINS0_14default_configEN2at4cuda3cub6detail10OpaqueTypeILi4EEEEESA_PSA_SC_NS0_8identityISA_EEEEvT1_mT2_T3_: ; @_ZN7rocprim17ROCPRIM_304000_NS6detail16transform_kernelINS1_24wrapped_transform_configINS0_14default_configEN2at4cuda3cub6detail10OpaqueTypeILi4EEEEESA_PSA_SC_NS0_8identityISA_EEEEvT1_mT2_T3_
; %bb.0:
	s_load_dword s3, s[0:1], 0x20
	s_load_dwordx4 s[4:7], s[0:1], 0x0
	s_load_dwordx2 s[8:9], s[0:1], 0x10
	s_lshl_b32 s10, s2, 8
	s_mov_b32 s11, 0
	s_waitcnt lgkmcnt(0)
	s_add_i32 s3, s3, -1
	s_lshl_b64 s[0:1], s[10:11], 2
	s_add_u32 s4, s4, s0
	s_addc_u32 s5, s5, s1
	v_mov_b32_e32 v3, 0
	v_lshlrev_b32_e32 v2, 2, v0
	s_cmp_lg_u32 s2, s3
	v_lshl_add_u64 v[4:5], s[4:5], 0, v[2:3]
	s_cbranch_scc0 .LBB6_2
; %bb.1:
	global_load_dword v3, v[4:5], off
	global_load_dword v1, v[4:5], off offset:512
	s_add_u32 s2, s8, s0
	s_addc_u32 s3, s9, s1
	s_waitcnt vmcnt(1)
	global_store_dword v2, v3, s[2:3]
	s_mov_b64 s[2:3], -1
	s_cbranch_execz .LBB6_3
	s_branch .LBB6_10
.LBB6_2:
	s_mov_b64 s[2:3], 0
                                        ; implicit-def: $vgpr1
.LBB6_3:
	s_sub_i32 s4, s6, s10
	v_cmp_gt_u32_e32 vcc, s4, v0
                                        ; implicit-def: $vgpr3
	s_and_saveexec_b64 s[2:3], vcc
	s_cbranch_execz .LBB6_5
; %bb.4:
	global_load_dword v3, v[4:5], off
.LBB6_5:
	s_or_b64 exec, exec, s[2:3]
	v_or_b32_e32 v0, 0x80, v0
	v_cmp_gt_u32_e64 s[2:3], s4, v0
                                        ; implicit-def: $vgpr1
	s_and_saveexec_b64 s[4:5], s[2:3]
	s_cbranch_execz .LBB6_7
; %bb.6:
	global_load_dword v1, v[4:5], off offset:512
.LBB6_7:
	s_or_b64 exec, exec, s[4:5]
	s_and_saveexec_b64 s[4:5], vcc
	s_cbranch_execz .LBB6_9
; %bb.8:
	s_add_u32 s6, s8, s0
	s_addc_u32 s7, s9, s1
	s_waitcnt vmcnt(0)
	global_store_dword v2, v3, s[6:7]
.LBB6_9:
	s_or_b64 exec, exec, s[4:5]
.LBB6_10:
	s_and_saveexec_b64 s[4:5], s[2:3]
	s_cbranch_execnz .LBB6_12
; %bb.11:
	s_endpgm
.LBB6_12:
	s_add_u32 s0, s8, s0
	s_addc_u32 s1, s9, s1
	s_waitcnt vmcnt(0)
	global_store_dword v2, v1, s[0:1] offset:512
	s_endpgm
	.section	.rodata,"a",@progbits
	.p2align	6, 0x0
	.amdhsa_kernel _ZN7rocprim17ROCPRIM_304000_NS6detail16transform_kernelINS1_24wrapped_transform_configINS0_14default_configEN2at4cuda3cub6detail10OpaqueTypeILi4EEEEESA_PSA_SC_NS0_8identityISA_EEEEvT1_mT2_T3_
		.amdhsa_group_segment_fixed_size 0
		.amdhsa_private_segment_fixed_size 0
		.amdhsa_kernarg_size 288
		.amdhsa_user_sgpr_count 2
		.amdhsa_user_sgpr_dispatch_ptr 0
		.amdhsa_user_sgpr_queue_ptr 0
		.amdhsa_user_sgpr_kernarg_segment_ptr 1
		.amdhsa_user_sgpr_dispatch_id 0
		.amdhsa_user_sgpr_kernarg_preload_length 0
		.amdhsa_user_sgpr_kernarg_preload_offset 0
		.amdhsa_user_sgpr_private_segment_size 0
		.amdhsa_uses_dynamic_stack 0
		.amdhsa_enable_private_segment 0
		.amdhsa_system_sgpr_workgroup_id_x 1
		.amdhsa_system_sgpr_workgroup_id_y 0
		.amdhsa_system_sgpr_workgroup_id_z 0
		.amdhsa_system_sgpr_workgroup_info 0
		.amdhsa_system_vgpr_workitem_id 0
		.amdhsa_next_free_vgpr 6
		.amdhsa_next_free_sgpr 12
		.amdhsa_accum_offset 8
		.amdhsa_reserve_vcc 1
		.amdhsa_float_round_mode_32 0
		.amdhsa_float_round_mode_16_64 0
		.amdhsa_float_denorm_mode_32 3
		.amdhsa_float_denorm_mode_16_64 3
		.amdhsa_dx10_clamp 1
		.amdhsa_ieee_mode 1
		.amdhsa_fp16_overflow 0
		.amdhsa_tg_split 0
		.amdhsa_exception_fp_ieee_invalid_op 0
		.amdhsa_exception_fp_denorm_src 0
		.amdhsa_exception_fp_ieee_div_zero 0
		.amdhsa_exception_fp_ieee_overflow 0
		.amdhsa_exception_fp_ieee_underflow 0
		.amdhsa_exception_fp_ieee_inexact 0
		.amdhsa_exception_int_div_zero 0
	.end_amdhsa_kernel
	.section	.text._ZN7rocprim17ROCPRIM_304000_NS6detail16transform_kernelINS1_24wrapped_transform_configINS0_14default_configEN2at4cuda3cub6detail10OpaqueTypeILi4EEEEESA_PSA_SC_NS0_8identityISA_EEEEvT1_mT2_T3_,"axG",@progbits,_ZN7rocprim17ROCPRIM_304000_NS6detail16transform_kernelINS1_24wrapped_transform_configINS0_14default_configEN2at4cuda3cub6detail10OpaqueTypeILi4EEEEESA_PSA_SC_NS0_8identityISA_EEEEvT1_mT2_T3_,comdat
.Lfunc_end6:
	.size	_ZN7rocprim17ROCPRIM_304000_NS6detail16transform_kernelINS1_24wrapped_transform_configINS0_14default_configEN2at4cuda3cub6detail10OpaqueTypeILi4EEEEESA_PSA_SC_NS0_8identityISA_EEEEvT1_mT2_T3_, .Lfunc_end6-_ZN7rocprim17ROCPRIM_304000_NS6detail16transform_kernelINS1_24wrapped_transform_configINS0_14default_configEN2at4cuda3cub6detail10OpaqueTypeILi4EEEEESA_PSA_SC_NS0_8identityISA_EEEEvT1_mT2_T3_
                                        ; -- End function
	.set _ZN7rocprim17ROCPRIM_304000_NS6detail16transform_kernelINS1_24wrapped_transform_configINS0_14default_configEN2at4cuda3cub6detail10OpaqueTypeILi4EEEEESA_PSA_SC_NS0_8identityISA_EEEEvT1_mT2_T3_.num_vgpr, 6
	.set _ZN7rocprim17ROCPRIM_304000_NS6detail16transform_kernelINS1_24wrapped_transform_configINS0_14default_configEN2at4cuda3cub6detail10OpaqueTypeILi4EEEEESA_PSA_SC_NS0_8identityISA_EEEEvT1_mT2_T3_.num_agpr, 0
	.set _ZN7rocprim17ROCPRIM_304000_NS6detail16transform_kernelINS1_24wrapped_transform_configINS0_14default_configEN2at4cuda3cub6detail10OpaqueTypeILi4EEEEESA_PSA_SC_NS0_8identityISA_EEEEvT1_mT2_T3_.numbered_sgpr, 12
	.set _ZN7rocprim17ROCPRIM_304000_NS6detail16transform_kernelINS1_24wrapped_transform_configINS0_14default_configEN2at4cuda3cub6detail10OpaqueTypeILi4EEEEESA_PSA_SC_NS0_8identityISA_EEEEvT1_mT2_T3_.num_named_barrier, 0
	.set _ZN7rocprim17ROCPRIM_304000_NS6detail16transform_kernelINS1_24wrapped_transform_configINS0_14default_configEN2at4cuda3cub6detail10OpaqueTypeILi4EEEEESA_PSA_SC_NS0_8identityISA_EEEEvT1_mT2_T3_.private_seg_size, 0
	.set _ZN7rocprim17ROCPRIM_304000_NS6detail16transform_kernelINS1_24wrapped_transform_configINS0_14default_configEN2at4cuda3cub6detail10OpaqueTypeILi4EEEEESA_PSA_SC_NS0_8identityISA_EEEEvT1_mT2_T3_.uses_vcc, 1
	.set _ZN7rocprim17ROCPRIM_304000_NS6detail16transform_kernelINS1_24wrapped_transform_configINS0_14default_configEN2at4cuda3cub6detail10OpaqueTypeILi4EEEEESA_PSA_SC_NS0_8identityISA_EEEEvT1_mT2_T3_.uses_flat_scratch, 0
	.set _ZN7rocprim17ROCPRIM_304000_NS6detail16transform_kernelINS1_24wrapped_transform_configINS0_14default_configEN2at4cuda3cub6detail10OpaqueTypeILi4EEEEESA_PSA_SC_NS0_8identityISA_EEEEvT1_mT2_T3_.has_dyn_sized_stack, 0
	.set _ZN7rocprim17ROCPRIM_304000_NS6detail16transform_kernelINS1_24wrapped_transform_configINS0_14default_configEN2at4cuda3cub6detail10OpaqueTypeILi4EEEEESA_PSA_SC_NS0_8identityISA_EEEEvT1_mT2_T3_.has_recursion, 0
	.set _ZN7rocprim17ROCPRIM_304000_NS6detail16transform_kernelINS1_24wrapped_transform_configINS0_14default_configEN2at4cuda3cub6detail10OpaqueTypeILi4EEEEESA_PSA_SC_NS0_8identityISA_EEEEvT1_mT2_T3_.has_indirect_call, 0
	.section	.AMDGPU.csdata,"",@progbits
; Kernel info:
; codeLenInByte = 260
; TotalNumSgprs: 18
; NumVgprs: 6
; NumAgprs: 0
; TotalNumVgprs: 6
; ScratchSize: 0
; MemoryBound: 0
; FloatMode: 240
; IeeeMode: 1
; LDSByteSize: 0 bytes/workgroup (compile time only)
; SGPRBlocks: 2
; VGPRBlocks: 0
; NumSGPRsForWavesPerEU: 18
; NumVGPRsForWavesPerEU: 6
; AccumOffset: 8
; Occupancy: 8
; WaveLimiterHint : 1
; COMPUTE_PGM_RSRC2:SCRATCH_EN: 0
; COMPUTE_PGM_RSRC2:USER_SGPR: 2
; COMPUTE_PGM_RSRC2:TRAP_HANDLER: 0
; COMPUTE_PGM_RSRC2:TGID_X_EN: 1
; COMPUTE_PGM_RSRC2:TGID_Y_EN: 0
; COMPUTE_PGM_RSRC2:TGID_Z_EN: 0
; COMPUTE_PGM_RSRC2:TIDIG_COMP_CNT: 0
; COMPUTE_PGM_RSRC3_GFX90A:ACCUM_OFFSET: 1
; COMPUTE_PGM_RSRC3_GFX90A:TG_SPLIT: 0
	.section	.text._ZN7rocprim17ROCPRIM_304000_NS6detail45device_block_merge_mergepath_partition_kernelINS1_37wrapped_merge_sort_block_merge_configINS0_14default_configEiN2at4cuda3cub6detail10OpaqueTypeILi4EEEEEPijNS1_19radix_merge_compareILb1ELb1EiNS0_19identity_decomposerEEEEEvT0_T1_jPSH_T2_SH_,"axG",@progbits,_ZN7rocprim17ROCPRIM_304000_NS6detail45device_block_merge_mergepath_partition_kernelINS1_37wrapped_merge_sort_block_merge_configINS0_14default_configEiN2at4cuda3cub6detail10OpaqueTypeILi4EEEEEPijNS1_19radix_merge_compareILb1ELb1EiNS0_19identity_decomposerEEEEEvT0_T1_jPSH_T2_SH_,comdat
	.protected	_ZN7rocprim17ROCPRIM_304000_NS6detail45device_block_merge_mergepath_partition_kernelINS1_37wrapped_merge_sort_block_merge_configINS0_14default_configEiN2at4cuda3cub6detail10OpaqueTypeILi4EEEEEPijNS1_19radix_merge_compareILb1ELb1EiNS0_19identity_decomposerEEEEEvT0_T1_jPSH_T2_SH_ ; -- Begin function _ZN7rocprim17ROCPRIM_304000_NS6detail45device_block_merge_mergepath_partition_kernelINS1_37wrapped_merge_sort_block_merge_configINS0_14default_configEiN2at4cuda3cub6detail10OpaqueTypeILi4EEEEEPijNS1_19radix_merge_compareILb1ELb1EiNS0_19identity_decomposerEEEEEvT0_T1_jPSH_T2_SH_
	.globl	_ZN7rocprim17ROCPRIM_304000_NS6detail45device_block_merge_mergepath_partition_kernelINS1_37wrapped_merge_sort_block_merge_configINS0_14default_configEiN2at4cuda3cub6detail10OpaqueTypeILi4EEEEEPijNS1_19radix_merge_compareILb1ELb1EiNS0_19identity_decomposerEEEEEvT0_T1_jPSH_T2_SH_
	.p2align	8
	.type	_ZN7rocprim17ROCPRIM_304000_NS6detail45device_block_merge_mergepath_partition_kernelINS1_37wrapped_merge_sort_block_merge_configINS0_14default_configEiN2at4cuda3cub6detail10OpaqueTypeILi4EEEEEPijNS1_19radix_merge_compareILb1ELb1EiNS0_19identity_decomposerEEEEEvT0_T1_jPSH_T2_SH_,@function
_ZN7rocprim17ROCPRIM_304000_NS6detail45device_block_merge_mergepath_partition_kernelINS1_37wrapped_merge_sort_block_merge_configINS0_14default_configEiN2at4cuda3cub6detail10OpaqueTypeILi4EEEEEPijNS1_19radix_merge_compareILb1ELb1EiNS0_19identity_decomposerEEEEEvT0_T1_jPSH_T2_SH_: ; @_ZN7rocprim17ROCPRIM_304000_NS6detail45device_block_merge_mergepath_partition_kernelINS1_37wrapped_merge_sort_block_merge_configINS0_14default_configEiN2at4cuda3cub6detail10OpaqueTypeILi4EEEEEPijNS1_19radix_merge_compareILb1ELb1EiNS0_19identity_decomposerEEEEEvT0_T1_jPSH_T2_SH_
; %bb.0:
	s_load_dwordx2 s[4:5], s[0:1], 0x8
	v_lshl_or_b32 v0, s2, 7, v0
	s_waitcnt lgkmcnt(0)
	v_cmp_gt_u32_e32 vcc, s5, v0
	s_and_saveexec_b64 s[2:3], vcc
	s_cbranch_execz .LBB7_6
; %bb.1:
	s_load_dwordx2 s[2:3], s[0:1], 0x18
	s_waitcnt lgkmcnt(0)
	s_lshr_b32 s5, s3, 9
	s_and_b32 s5, s5, 0x7ffffe
	s_add_i32 s6, s5, -1
	s_sub_i32 s5, 0, s5
	v_and_b32_e32 v1, s5, v0
	v_and_b32_e32 v2, s6, v0
	v_lshlrev_b32_e32 v1, 10, v1
	v_lshlrev_b32_e32 v3, 10, v2
	v_min_u32_e32 v2, s4, v1
	v_add_u32_e32 v1, s3, v1
	v_min_u32_e32 v4, s4, v1
	v_add_u32_e32 v1, s3, v4
	v_min_u32_e32 v1, s4, v1
	v_sub_u32_e32 v5, v1, v2
	v_min_u32_e32 v10, v5, v3
	v_sub_u32_e32 v3, v4, v2
	v_sub_u32_e32 v1, v1, v4
	v_sub_u32_e64 v1, v10, v1 clamp
	v_min_u32_e32 v11, v10, v3
	v_cmp_lt_u32_e32 vcc, v1, v11
	s_and_saveexec_b64 s[4:5], vcc
	s_cbranch_execz .LBB7_5
; %bb.2:
	s_load_dwordx2 s[6:7], s[0:1], 0x0
	v_mov_b32_e32 v5, 0
	v_mov_b32_e32 v3, v5
	s_waitcnt lgkmcnt(0)
	v_lshl_add_u64 v[6:7], v[2:3], 2, s[6:7]
	v_lshl_add_u64 v[8:9], v[4:5], 2, s[6:7]
	s_mov_b64 s[6:7], 0
.LBB7_3:                                ; =>This Inner Loop Header: Depth=1
	v_add_u32_e32 v3, v11, v1
	v_lshrrev_b32_e32 v4, 1, v3
	v_mov_b32_e32 v13, v5
	v_xad_u32 v12, v4, -1, v10
	v_lshl_add_u64 v[14:15], v[4:5], 2, v[6:7]
	v_lshl_add_u64 v[12:13], v[12:13], 2, v[8:9]
	global_load_dword v3, v[14:15], off
	global_load_dword v16, v[12:13], off
	v_add_u32_e32 v12, 1, v4
	s_waitcnt vmcnt(1)
	v_and_b32_e32 v3, s2, v3
	s_waitcnt vmcnt(0)
	v_and_b32_e32 v13, s2, v16
	v_cmp_gt_i32_e32 vcc, v13, v3
	s_nop 1
	v_cndmask_b32_e32 v11, v11, v4, vcc
	v_cndmask_b32_e32 v1, v12, v1, vcc
	v_cmp_ge_u32_e32 vcc, v1, v11
	s_or_b64 s[6:7], vcc, s[6:7]
	s_andn2_b64 exec, exec, s[6:7]
	s_cbranch_execnz .LBB7_3
; %bb.4:
	s_or_b64 exec, exec, s[6:7]
.LBB7_5:
	s_or_b64 exec, exec, s[4:5]
	s_load_dwordx2 s[0:1], s[0:1], 0x10
	v_add_u32_e32 v2, v1, v2
	v_mov_b32_e32 v1, 0
	s_waitcnt lgkmcnt(0)
	v_lshl_add_u64 v[0:1], v[0:1], 2, s[0:1]
	global_store_dword v[0:1], v2, off
.LBB7_6:
	s_endpgm
	.section	.rodata,"a",@progbits
	.p2align	6, 0x0
	.amdhsa_kernel _ZN7rocprim17ROCPRIM_304000_NS6detail45device_block_merge_mergepath_partition_kernelINS1_37wrapped_merge_sort_block_merge_configINS0_14default_configEiN2at4cuda3cub6detail10OpaqueTypeILi4EEEEEPijNS1_19radix_merge_compareILb1ELb1EiNS0_19identity_decomposerEEEEEvT0_T1_jPSH_T2_SH_
		.amdhsa_group_segment_fixed_size 0
		.amdhsa_private_segment_fixed_size 0
		.amdhsa_kernarg_size 32
		.amdhsa_user_sgpr_count 2
		.amdhsa_user_sgpr_dispatch_ptr 0
		.amdhsa_user_sgpr_queue_ptr 0
		.amdhsa_user_sgpr_kernarg_segment_ptr 1
		.amdhsa_user_sgpr_dispatch_id 0
		.amdhsa_user_sgpr_kernarg_preload_length 0
		.amdhsa_user_sgpr_kernarg_preload_offset 0
		.amdhsa_user_sgpr_private_segment_size 0
		.amdhsa_uses_dynamic_stack 0
		.amdhsa_enable_private_segment 0
		.amdhsa_system_sgpr_workgroup_id_x 1
		.amdhsa_system_sgpr_workgroup_id_y 0
		.amdhsa_system_sgpr_workgroup_id_z 0
		.amdhsa_system_sgpr_workgroup_info 0
		.amdhsa_system_vgpr_workitem_id 0
		.amdhsa_next_free_vgpr 17
		.amdhsa_next_free_sgpr 8
		.amdhsa_accum_offset 20
		.amdhsa_reserve_vcc 1
		.amdhsa_float_round_mode_32 0
		.amdhsa_float_round_mode_16_64 0
		.amdhsa_float_denorm_mode_32 3
		.amdhsa_float_denorm_mode_16_64 3
		.amdhsa_dx10_clamp 1
		.amdhsa_ieee_mode 1
		.amdhsa_fp16_overflow 0
		.amdhsa_tg_split 0
		.amdhsa_exception_fp_ieee_invalid_op 0
		.amdhsa_exception_fp_denorm_src 0
		.amdhsa_exception_fp_ieee_div_zero 0
		.amdhsa_exception_fp_ieee_overflow 0
		.amdhsa_exception_fp_ieee_underflow 0
		.amdhsa_exception_fp_ieee_inexact 0
		.amdhsa_exception_int_div_zero 0
	.end_amdhsa_kernel
	.section	.text._ZN7rocprim17ROCPRIM_304000_NS6detail45device_block_merge_mergepath_partition_kernelINS1_37wrapped_merge_sort_block_merge_configINS0_14default_configEiN2at4cuda3cub6detail10OpaqueTypeILi4EEEEEPijNS1_19radix_merge_compareILb1ELb1EiNS0_19identity_decomposerEEEEEvT0_T1_jPSH_T2_SH_,"axG",@progbits,_ZN7rocprim17ROCPRIM_304000_NS6detail45device_block_merge_mergepath_partition_kernelINS1_37wrapped_merge_sort_block_merge_configINS0_14default_configEiN2at4cuda3cub6detail10OpaqueTypeILi4EEEEEPijNS1_19radix_merge_compareILb1ELb1EiNS0_19identity_decomposerEEEEEvT0_T1_jPSH_T2_SH_,comdat
.Lfunc_end7:
	.size	_ZN7rocprim17ROCPRIM_304000_NS6detail45device_block_merge_mergepath_partition_kernelINS1_37wrapped_merge_sort_block_merge_configINS0_14default_configEiN2at4cuda3cub6detail10OpaqueTypeILi4EEEEEPijNS1_19radix_merge_compareILb1ELb1EiNS0_19identity_decomposerEEEEEvT0_T1_jPSH_T2_SH_, .Lfunc_end7-_ZN7rocprim17ROCPRIM_304000_NS6detail45device_block_merge_mergepath_partition_kernelINS1_37wrapped_merge_sort_block_merge_configINS0_14default_configEiN2at4cuda3cub6detail10OpaqueTypeILi4EEEEEPijNS1_19radix_merge_compareILb1ELb1EiNS0_19identity_decomposerEEEEEvT0_T1_jPSH_T2_SH_
                                        ; -- End function
	.set _ZN7rocprim17ROCPRIM_304000_NS6detail45device_block_merge_mergepath_partition_kernelINS1_37wrapped_merge_sort_block_merge_configINS0_14default_configEiN2at4cuda3cub6detail10OpaqueTypeILi4EEEEEPijNS1_19radix_merge_compareILb1ELb1EiNS0_19identity_decomposerEEEEEvT0_T1_jPSH_T2_SH_.num_vgpr, 17
	.set _ZN7rocprim17ROCPRIM_304000_NS6detail45device_block_merge_mergepath_partition_kernelINS1_37wrapped_merge_sort_block_merge_configINS0_14default_configEiN2at4cuda3cub6detail10OpaqueTypeILi4EEEEEPijNS1_19radix_merge_compareILb1ELb1EiNS0_19identity_decomposerEEEEEvT0_T1_jPSH_T2_SH_.num_agpr, 0
	.set _ZN7rocprim17ROCPRIM_304000_NS6detail45device_block_merge_mergepath_partition_kernelINS1_37wrapped_merge_sort_block_merge_configINS0_14default_configEiN2at4cuda3cub6detail10OpaqueTypeILi4EEEEEPijNS1_19radix_merge_compareILb1ELb1EiNS0_19identity_decomposerEEEEEvT0_T1_jPSH_T2_SH_.numbered_sgpr, 8
	.set _ZN7rocprim17ROCPRIM_304000_NS6detail45device_block_merge_mergepath_partition_kernelINS1_37wrapped_merge_sort_block_merge_configINS0_14default_configEiN2at4cuda3cub6detail10OpaqueTypeILi4EEEEEPijNS1_19radix_merge_compareILb1ELb1EiNS0_19identity_decomposerEEEEEvT0_T1_jPSH_T2_SH_.num_named_barrier, 0
	.set _ZN7rocprim17ROCPRIM_304000_NS6detail45device_block_merge_mergepath_partition_kernelINS1_37wrapped_merge_sort_block_merge_configINS0_14default_configEiN2at4cuda3cub6detail10OpaqueTypeILi4EEEEEPijNS1_19radix_merge_compareILb1ELb1EiNS0_19identity_decomposerEEEEEvT0_T1_jPSH_T2_SH_.private_seg_size, 0
	.set _ZN7rocprim17ROCPRIM_304000_NS6detail45device_block_merge_mergepath_partition_kernelINS1_37wrapped_merge_sort_block_merge_configINS0_14default_configEiN2at4cuda3cub6detail10OpaqueTypeILi4EEEEEPijNS1_19radix_merge_compareILb1ELb1EiNS0_19identity_decomposerEEEEEvT0_T1_jPSH_T2_SH_.uses_vcc, 1
	.set _ZN7rocprim17ROCPRIM_304000_NS6detail45device_block_merge_mergepath_partition_kernelINS1_37wrapped_merge_sort_block_merge_configINS0_14default_configEiN2at4cuda3cub6detail10OpaqueTypeILi4EEEEEPijNS1_19radix_merge_compareILb1ELb1EiNS0_19identity_decomposerEEEEEvT0_T1_jPSH_T2_SH_.uses_flat_scratch, 0
	.set _ZN7rocprim17ROCPRIM_304000_NS6detail45device_block_merge_mergepath_partition_kernelINS1_37wrapped_merge_sort_block_merge_configINS0_14default_configEiN2at4cuda3cub6detail10OpaqueTypeILi4EEEEEPijNS1_19radix_merge_compareILb1ELb1EiNS0_19identity_decomposerEEEEEvT0_T1_jPSH_T2_SH_.has_dyn_sized_stack, 0
	.set _ZN7rocprim17ROCPRIM_304000_NS6detail45device_block_merge_mergepath_partition_kernelINS1_37wrapped_merge_sort_block_merge_configINS0_14default_configEiN2at4cuda3cub6detail10OpaqueTypeILi4EEEEEPijNS1_19radix_merge_compareILb1ELb1EiNS0_19identity_decomposerEEEEEvT0_T1_jPSH_T2_SH_.has_recursion, 0
	.set _ZN7rocprim17ROCPRIM_304000_NS6detail45device_block_merge_mergepath_partition_kernelINS1_37wrapped_merge_sort_block_merge_configINS0_14default_configEiN2at4cuda3cub6detail10OpaqueTypeILi4EEEEEPijNS1_19radix_merge_compareILb1ELb1EiNS0_19identity_decomposerEEEEEvT0_T1_jPSH_T2_SH_.has_indirect_call, 0
	.section	.AMDGPU.csdata,"",@progbits
; Kernel info:
; codeLenInByte = 332
; TotalNumSgprs: 14
; NumVgprs: 17
; NumAgprs: 0
; TotalNumVgprs: 17
; ScratchSize: 0
; MemoryBound: 0
; FloatMode: 240
; IeeeMode: 1
; LDSByteSize: 0 bytes/workgroup (compile time only)
; SGPRBlocks: 1
; VGPRBlocks: 2
; NumSGPRsForWavesPerEU: 14
; NumVGPRsForWavesPerEU: 17
; AccumOffset: 20
; Occupancy: 8
; WaveLimiterHint : 0
; COMPUTE_PGM_RSRC2:SCRATCH_EN: 0
; COMPUTE_PGM_RSRC2:USER_SGPR: 2
; COMPUTE_PGM_RSRC2:TRAP_HANDLER: 0
; COMPUTE_PGM_RSRC2:TGID_X_EN: 1
; COMPUTE_PGM_RSRC2:TGID_Y_EN: 0
; COMPUTE_PGM_RSRC2:TGID_Z_EN: 0
; COMPUTE_PGM_RSRC2:TIDIG_COMP_CNT: 0
; COMPUTE_PGM_RSRC3_GFX90A:ACCUM_OFFSET: 4
; COMPUTE_PGM_RSRC3_GFX90A:TG_SPLIT: 0
	.section	.text._ZN7rocprim17ROCPRIM_304000_NS6detail35device_block_merge_mergepath_kernelINS1_37wrapped_merge_sort_block_merge_configINS0_14default_configEiN2at4cuda3cub6detail10OpaqueTypeILi4EEEEEPiSC_PSA_SD_jNS1_19radix_merge_compareILb1ELb1EiNS0_19identity_decomposerEEEEEvT0_T1_T2_T3_T4_SL_jT5_PKSL_NS1_7vsmem_tE,"axG",@progbits,_ZN7rocprim17ROCPRIM_304000_NS6detail35device_block_merge_mergepath_kernelINS1_37wrapped_merge_sort_block_merge_configINS0_14default_configEiN2at4cuda3cub6detail10OpaqueTypeILi4EEEEEPiSC_PSA_SD_jNS1_19radix_merge_compareILb1ELb1EiNS0_19identity_decomposerEEEEEvT0_T1_T2_T3_T4_SL_jT5_PKSL_NS1_7vsmem_tE,comdat
	.protected	_ZN7rocprim17ROCPRIM_304000_NS6detail35device_block_merge_mergepath_kernelINS1_37wrapped_merge_sort_block_merge_configINS0_14default_configEiN2at4cuda3cub6detail10OpaqueTypeILi4EEEEEPiSC_PSA_SD_jNS1_19radix_merge_compareILb1ELb1EiNS0_19identity_decomposerEEEEEvT0_T1_T2_T3_T4_SL_jT5_PKSL_NS1_7vsmem_tE ; -- Begin function _ZN7rocprim17ROCPRIM_304000_NS6detail35device_block_merge_mergepath_kernelINS1_37wrapped_merge_sort_block_merge_configINS0_14default_configEiN2at4cuda3cub6detail10OpaqueTypeILi4EEEEEPiSC_PSA_SD_jNS1_19radix_merge_compareILb1ELb1EiNS0_19identity_decomposerEEEEEvT0_T1_T2_T3_T4_SL_jT5_PKSL_NS1_7vsmem_tE
	.globl	_ZN7rocprim17ROCPRIM_304000_NS6detail35device_block_merge_mergepath_kernelINS1_37wrapped_merge_sort_block_merge_configINS0_14default_configEiN2at4cuda3cub6detail10OpaqueTypeILi4EEEEEPiSC_PSA_SD_jNS1_19radix_merge_compareILb1ELb1EiNS0_19identity_decomposerEEEEEvT0_T1_T2_T3_T4_SL_jT5_PKSL_NS1_7vsmem_tE
	.p2align	8
	.type	_ZN7rocprim17ROCPRIM_304000_NS6detail35device_block_merge_mergepath_kernelINS1_37wrapped_merge_sort_block_merge_configINS0_14default_configEiN2at4cuda3cub6detail10OpaqueTypeILi4EEEEEPiSC_PSA_SD_jNS1_19radix_merge_compareILb1ELb1EiNS0_19identity_decomposerEEEEEvT0_T1_T2_T3_T4_SL_jT5_PKSL_NS1_7vsmem_tE,@function
_ZN7rocprim17ROCPRIM_304000_NS6detail35device_block_merge_mergepath_kernelINS1_37wrapped_merge_sort_block_merge_configINS0_14default_configEiN2at4cuda3cub6detail10OpaqueTypeILi4EEEEEPiSC_PSA_SD_jNS1_19radix_merge_compareILb1ELb1EiNS0_19identity_decomposerEEEEEvT0_T1_T2_T3_T4_SL_jT5_PKSL_NS1_7vsmem_tE: ; @_ZN7rocprim17ROCPRIM_304000_NS6detail35device_block_merge_mergepath_kernelINS1_37wrapped_merge_sort_block_merge_configINS0_14default_configEiN2at4cuda3cub6detail10OpaqueTypeILi4EEEEEPiSC_PSA_SD_jNS1_19radix_merge_compareILb1ELb1EiNS0_19identity_decomposerEEEEEvT0_T1_T2_T3_T4_SL_jT5_PKSL_NS1_7vsmem_tE
; %bb.0:
	s_load_dwordx2 s[34:35], s[0:1], 0x40
	s_load_dwordx4 s[16:19], s[0:1], 0x20
	s_add_u32 s30, s0, 64
	s_addc_u32 s31, s1, 0
	s_waitcnt lgkmcnt(0)
	s_mul_i32 s4, s35, s4
	s_add_i32 s3, s4, s3
	s_mul_i32 s3, s3, s34
	s_add_i32 s6, s3, s2
	s_cmp_ge_u32 s6, s18
	s_cbranch_scc1 .LBB8_67
; %bb.1:
	s_load_dwordx8 s[8:15], s[0:1], 0x0
	s_load_dwordx2 s[4:5], s[0:1], 0x30
	s_lshr_b32 s36, s16, 10
	s_cmp_lg_u32 s6, s36
	s_mov_b32 s7, 0
	s_cselect_b64 s[20:21], -1, 0
	s_lshl_b64 s[0:1], s[6:7], 2
	s_waitcnt lgkmcnt(0)
	s_add_u32 s0, s4, s0
	s_addc_u32 s1, s5, s1
	s_load_dwordx2 s[22:23], s[0:1], 0x0
	s_lshr_b32 s0, s17, 9
	s_and_b32 s0, s0, 0x7ffffe
	s_sub_i32 s0, 0, s0
	s_and_b32 s1, s6, s0
	s_lshl_b32 s3, s1, 10
	s_lshl_b32 s18, s6, 10
	;; [unrolled: 1-line block ×3, first 2 shown]
	s_sub_i32 s4, s18, s3
	s_add_i32 s1, s1, s17
	s_add_i32 s4, s1, s4
	s_waitcnt lgkmcnt(0)
	s_sub_i32 s5, s4, s22
	s_sub_i32 s4, s4, s23
	;; [unrolled: 1-line block ×3, first 2 shown]
	s_min_u32 s24, s16, s5
	s_addk_i32 s4, 0x400
	s_or_b32 s0, s6, s0
	s_min_u32 s3, s16, s1
	s_add_i32 s1, s1, s17
	s_cmp_eq_u32 s0, -1
	s_cselect_b32 s0, s1, s4
	s_cselect_b32 s1, s3, s23
	s_min_u32 s0, s0, s16
	s_mov_b32 s23, s7
	s_sub_i32 s33, s1, s22
	s_sub_i32 s35, s0, s24
	s_lshl_b64 s[26:27], s[22:23], 2
	s_add_u32 s0, s8, s26
	s_mov_b32 s25, s7
	s_addc_u32 s1, s9, s27
	s_lshl_b64 s[28:29], s[24:25], 2
	s_add_u32 s4, s8, s28
	s_addc_u32 s5, s9, s29
	s_cmp_lt_u32 s2, s34
	v_mov_b32_e32 v7, 0
	s_cselect_b32 s2, 12, 18
	global_load_dword v1, v7, s[30:31] offset:14
	s_add_u32 s2, s30, s2
	s_addc_u32 s3, s31, 0
	global_load_ushort v2, v7, s[2:3]
	v_cmp_gt_u32_e32 vcc, s33, v0
	s_cmp_eq_u32 s6, s36
	v_lshlrev_b32_e32 v6, 2, v0
	s_waitcnt vmcnt(1)
	v_lshrrev_b32_e32 v3, 16, v1
	v_and_b32_e32 v1, 0xffff, v1
	v_mul_lo_u32 v1, v1, v3
	s_waitcnt vmcnt(0)
	v_mul_lo_u32 v1, v1, v2
	v_add_u32_e32 v8, v1, v0
	s_cbranch_scc1 .LBB8_3
; %bb.2:
	v_subrev_u32_e32 v4, s33, v0
	v_lshlrev_b32_e32 v4, 2, v4
	v_mov_b32_e32 v5, v7
	v_lshl_add_u64 v[2:3], s[0:1], 0, v[6:7]
	v_lshl_add_u64 v[4:5], s[4:5], 0, v[4:5]
	v_cndmask_b32_e32 v3, v5, v3, vcc
	v_cndmask_b32_e32 v2, v4, v2, vcc
	v_mov_b32_e32 v9, v7
	v_subrev_co_u32_e32 v10, vcc, s33, v8
	v_mov_b32_e32 v11, v7
	v_lshl_add_u64 v[4:5], v[8:9], 2, s[0:1]
	v_lshl_add_u64 v[10:11], v[10:11], 2, s[4:5]
	v_cndmask_b32_e32 v4, v10, v4, vcc
	v_add_u32_e32 v10, v8, v1
	v_cndmask_b32_e32 v5, v11, v5, vcc
	v_mov_b32_e32 v11, v7
	v_subrev_co_u32_e32 v12, vcc, s33, v10
	v_mov_b32_e32 v13, v7
	global_load_dword v2, v[2:3], off
	v_lshl_add_u64 v[12:13], v[12:13], 2, s[4:5]
	global_load_dword v3, v[4:5], off
	v_lshl_add_u64 v[4:5], v[10:11], 2, s[0:1]
	v_add_u32_e32 v10, v10, v1
	v_cndmask_b32_e32 v5, v13, v5, vcc
	v_cndmask_b32_e32 v4, v12, v4, vcc
	v_lshl_add_u64 v[12:13], v[10:11], 2, s[0:1]
	v_subrev_co_u32_e32 v10, vcc, s33, v10
	v_lshl_add_u64 v[10:11], v[10:11], 2, s[4:5]
	s_nop 0
	v_cndmask_b32_e32 v11, v11, v13, vcc
	v_cndmask_b32_e32 v10, v10, v12, vcc
	global_load_dword v4, v[4:5], off
	s_add_i32 s17, s35, s33
	global_load_dword v5, v[10:11], off
	s_cbranch_execz .LBB8_4
	s_branch .LBB8_13
.LBB8_3:
                                        ; implicit-def: $vgpr2_vgpr3_vgpr4_vgpr5
                                        ; implicit-def: $sgpr17
.LBB8_4:
	s_add_i32 s17, s35, s33
	s_waitcnt vmcnt(3)
	v_mov_b32_e32 v2, 0
	v_cmp_gt_u32_e32 vcc, s17, v0
	s_waitcnt vmcnt(2)
	v_mov_b32_e32 v3, v2
	s_waitcnt vmcnt(1)
	v_mov_b32_e32 v4, v2
	;; [unrolled: 2-line block ×3, first 2 shown]
	s_and_saveexec_b64 s[2:3], vcc
	s_cbranch_execz .LBB8_6
; %bb.5:
	v_subrev_u32_e32 v3, s33, v0
	v_mov_b32_e32 v7, v2
	v_lshlrev_b32_e32 v10, 2, v3
	v_mov_b32_e32 v11, v2
	v_lshl_add_u64 v[4:5], s[0:1], 0, v[6:7]
	v_lshl_add_u64 v[10:11], s[4:5], 0, v[10:11]
	v_cmp_gt_u32_e32 vcc, s33, v0
	v_mov_b32_e32 v12, v2
	v_mov_b32_e32 v13, v2
	v_cndmask_b32_e32 v5, v11, v5, vcc
	v_cndmask_b32_e32 v4, v10, v4, vcc
	global_load_dword v10, v[4:5], off
	v_mov_b32_e32 v11, v2
	s_waitcnt vmcnt(0)
	v_mov_b64_e32 v[2:3], v[10:11]
	v_mov_b64_e32 v[4:5], v[12:13]
.LBB8_6:
	s_or_b64 exec, exec, s[2:3]
	v_cmp_gt_u32_e32 vcc, s17, v8
	s_and_saveexec_b64 s[2:3], vcc
	s_cbranch_execz .LBB8_8
; %bb.7:
	v_mov_b32_e32 v9, 0
	v_subrev_co_u32_e32 v12, vcc, s33, v8
	v_mov_b32_e32 v13, v9
	v_lshl_add_u64 v[10:11], v[8:9], 2, s[0:1]
	v_lshl_add_u64 v[12:13], v[12:13], 2, s[4:5]
	v_cndmask_b32_e32 v11, v13, v11, vcc
	v_cndmask_b32_e32 v10, v12, v10, vcc
	global_load_dword v3, v[10:11], off
.LBB8_8:
	s_or_b64 exec, exec, s[2:3]
	v_add_u32_e32 v8, v8, v1
	v_cmp_gt_u32_e32 vcc, s17, v8
	s_and_saveexec_b64 s[2:3], vcc
	s_cbranch_execz .LBB8_10
; %bb.9:
	v_mov_b32_e32 v9, 0
	v_subrev_co_u32_e32 v12, vcc, s33, v8
	v_mov_b32_e32 v13, v9
	v_lshl_add_u64 v[10:11], v[8:9], 2, s[0:1]
	v_lshl_add_u64 v[12:13], v[12:13], 2, s[4:5]
	v_cndmask_b32_e32 v11, v13, v11, vcc
	v_cndmask_b32_e32 v10, v12, v10, vcc
	global_load_dword v4, v[10:11], off
.LBB8_10:
	s_or_b64 exec, exec, s[2:3]
	v_add_u32_e32 v8, v8, v1
	v_cmp_gt_u32_e32 vcc, s17, v8
	s_and_saveexec_b64 s[2:3], vcc
	s_cbranch_execz .LBB8_12
; %bb.11:
	v_mov_b32_e32 v9, 0
	v_lshl_add_u64 v[10:11], v[8:9], 2, s[0:1]
	v_subrev_co_u32_e32 v8, vcc, s33, v8
	v_lshl_add_u64 v[8:9], v[8:9], 2, s[4:5]
	s_nop 0
	v_cndmask_b32_e32 v9, v9, v11, vcc
	v_cndmask_b32_e32 v8, v8, v10, vcc
	global_load_dword v5, v[8:9], off
.LBB8_12:
	s_or_b64 exec, exec, s[2:3]
.LBB8_13:
	v_min_u32_e32 v1, s17, v6
	v_sub_u32_e64 v7, v1, s35 clamp
	v_min_u32_e32 v8, s33, v1
	v_cmp_lt_u32_e32 vcc, v7, v8
	s_waitcnt vmcnt(0)
	ds_write2st64_b32 v6, v2, v3 offset1:4
	ds_write2st64_b32 v6, v4, v5 offset0:8 offset1:12
	s_waitcnt lgkmcnt(0)
	s_barrier
	s_and_saveexec_b64 s[0:1], vcc
	s_cbranch_execz .LBB8_17
; %bb.14:
	v_lshlrev_b32_e32 v9, 2, v1
	v_lshl_add_u32 v9, s33, 2, v9
	s_mov_b64 s[2:3], 0
.LBB8_15:                               ; =>This Inner Loop Header: Depth=1
	v_add_u32_e32 v10, v8, v7
	v_lshrrev_b32_e32 v10, 1, v10
	v_not_b32_e32 v11, v10
	v_lshlrev_b32_e32 v12, 2, v10
	v_lshl_add_u32 v11, v11, 2, v9
	ds_read_b32 v12, v12
	ds_read_b32 v11, v11
	v_add_u32_e32 v13, 1, v10
	s_waitcnt lgkmcnt(1)
	v_and_b32_e32 v12, s19, v12
	s_waitcnt lgkmcnt(0)
	v_and_b32_e32 v11, s19, v11
	v_cmp_gt_i32_e32 vcc, v11, v12
	s_nop 1
	v_cndmask_b32_e32 v8, v8, v10, vcc
	v_cndmask_b32_e32 v7, v13, v7, vcc
	v_cmp_ge_u32_e32 vcc, v7, v8
	s_or_b64 s[2:3], vcc, s[2:3]
	s_andn2_b64 exec, exec, s[2:3]
	s_cbranch_execnz .LBB8_15
; %bb.16:
	s_or_b64 exec, exec, s[2:3]
.LBB8_17:
	s_or_b64 exec, exec, s[0:1]
	v_sub_u32_e32 v1, v1, v7
	v_add_u32_e32 v8, s33, v1
	v_cmp_ge_u32_e32 vcc, s33, v7
	v_cmp_ge_u32_e64 s[0:1], s17, v8
	s_or_b64 s[0:1], vcc, s[0:1]
	v_mov_b32_e32 v1, 0
	v_mov_b32_e32 v12, 0
	;; [unrolled: 1-line block ×4, first 2 shown]
	s_and_saveexec_b64 s[8:9], s[0:1]
	s_cbranch_execz .LBB8_23
; %bb.18:
	v_cmp_gt_u32_e32 vcc, s33, v7
                                        ; implicit-def: $vgpr1
	s_and_saveexec_b64 s[0:1], vcc
; %bb.19:
	v_lshlrev_b32_e32 v1, 2, v7
	ds_read_b32 v1, v1
; %bb.20:
	s_or_b64 exec, exec, s[0:1]
	v_cmp_le_u32_e64 s[0:1], s17, v8
	v_cmp_gt_u32_e64 s[2:3], s17, v8
                                        ; implicit-def: $vgpr2
	s_and_saveexec_b64 s[4:5], s[2:3]
; %bb.21:
	v_lshlrev_b32_e32 v2, 2, v8
	ds_read_b32 v2, v2
; %bb.22:
	s_or_b64 exec, exec, s[4:5]
	s_waitcnt lgkmcnt(0)
	v_and_b32_e32 v3, s19, v2
	v_and_b32_e32 v4, s19, v1
	v_cmp_le_i32_e64 s[2:3], v3, v4
	s_and_b64 s[2:3], vcc, s[2:3]
	s_or_b64 vcc, s[0:1], s[2:3]
	v_mov_b32_e32 v3, s17
	v_mov_b32_e32 v4, s33
	v_cndmask_b32_e32 v14, v8, v7, vcc
	v_cndmask_b32_e32 v5, v3, v4, vcc
	v_add_u32_e32 v9, 1, v14
	v_add_u32_e32 v5, -1, v5
	v_min_u32_e32 v5, v9, v5
	v_lshlrev_b32_e32 v5, 2, v5
	ds_read_b32 v5, v5
	v_cndmask_b32_e32 v8, v9, v8, vcc
	v_cndmask_b32_e32 v7, v7, v9, vcc
	v_cmp_gt_u32_e64 s[2:3], s33, v7
	v_cmp_le_u32_e64 s[0:1], s17, v8
	s_waitcnt lgkmcnt(0)
	v_cndmask_b32_e32 v10, v5, v2, vcc
	v_cndmask_b32_e32 v5, v1, v5, vcc
	v_and_b32_e32 v9, s19, v10
	v_and_b32_e32 v11, s19, v5
	v_cmp_le_i32_e64 s[4:5], v9, v11
	s_and_b64 s[2:3], s[2:3], s[4:5]
	s_or_b64 s[0:1], s[0:1], s[2:3]
	v_cndmask_b32_e64 v13, v8, v7, s[0:1]
	v_cndmask_b32_e64 v9, v3, v4, s[0:1]
	v_add_u32_e32 v11, 1, v13
	v_add_u32_e32 v9, -1, v9
	v_min_u32_e32 v9, v11, v9
	v_lshlrev_b32_e32 v9, 2, v9
	ds_read_b32 v9, v9
	v_cndmask_b32_e64 v8, v11, v8, s[0:1]
	v_cndmask_b32_e64 v7, v7, v11, s[0:1]
	v_cmp_gt_u32_e64 s[4:5], s33, v7
	v_cmp_le_u32_e64 s[2:3], s17, v8
	s_waitcnt lgkmcnt(0)
	v_cndmask_b32_e64 v15, v9, v10, s[0:1]
	v_cndmask_b32_e64 v9, v5, v9, s[0:1]
	v_and_b32_e32 v11, s19, v15
	v_and_b32_e32 v12, s19, v9
	v_cmp_le_i32_e64 s[6:7], v11, v12
	s_and_b64 s[4:5], s[4:5], s[6:7]
	s_or_b64 s[2:3], s[2:3], s[4:5]
	v_cndmask_b32_e64 v12, v8, v7, s[2:3]
	v_cndmask_b32_e64 v3, v3, v4, s[2:3]
	v_add_u32_e32 v11, 1, v12
	v_add_u32_e32 v3, -1, v3
	v_min_u32_e32 v3, v11, v3
	v_lshlrev_b32_e32 v3, 2, v3
	ds_read_b32 v16, v3
	v_cndmask_b32_e64 v3, v10, v5, s[0:1]
	v_cndmask_b32_e64 v4, v15, v9, s[2:3]
	v_cndmask_b32_e32 v2, v2, v1, vcc
	v_cndmask_b32_e64 v1, v11, v8, s[2:3]
	s_waitcnt lgkmcnt(0)
	v_cndmask_b32_e64 v5, v16, v15, s[2:3]
	v_cndmask_b32_e64 v9, v9, v16, s[2:3]
	;; [unrolled: 1-line block ×3, first 2 shown]
	v_and_b32_e32 v8, s19, v5
	v_and_b32_e32 v10, s19, v9
	v_cmp_gt_u32_e64 s[0:1], s33, v7
	v_cmp_le_i32_e64 s[2:3], v8, v10
	v_cmp_le_u32_e32 vcc, s17, v1
	s_and_b64 s[0:1], s[0:1], s[2:3]
	s_or_b64 vcc, vcc, s[0:1]
	v_cndmask_b32_e32 v1, v1, v7, vcc
	v_cndmask_b32_e32 v5, v5, v9, vcc
.LBB8_23:
	s_or_b64 exec, exec, s[8:9]
	s_add_u32 s8, s12, s26
	s_addc_u32 s9, s13, s27
	s_add_u32 s6, s12, s28
	v_cndmask_b32_e64 v7, 0, 1, s[20:21]
	v_mov_b32_e32 v9, 0
	s_addc_u32 s7, s13, s29
	v_cmp_gt_u32_e64 s[4:5], s33, v0
	v_cmp_ne_u32_e64 s[0:1], 1, v7
	s_andn2_b64 vcc, exec, s[20:21]
	v_cmp_le_u32_e64 s[2:3], s33, v0
	s_barrier
	s_cbranch_vccnz .LBB8_25
; %bb.24:
	v_subrev_u32_e32 v7, s33, v0
	v_lshlrev_b32_e32 v8, 2, v7
	v_mov_b32_e32 v7, v9
	v_lshl_add_u64 v[16:17], s[8:9], 0, v[6:7]
	v_or_b32_e32 v7, 0x100, v0
	v_lshl_add_u64 v[10:11], s[6:7], 0, v[8:9]
	v_subrev_u32_e32 v8, s33, v7
	v_cndmask_b32_e64 v11, v11, v17, s[4:5]
	v_cndmask_b32_e64 v10, v10, v16, s[4:5]
	v_min_u32_e32 v8, v7, v8
	v_mov_b32_e32 v16, s7
	v_mov_b32_e32 v17, s9
	v_cmp_gt_u32_e32 vcc, s33, v7
	v_mov_b32_e32 v18, s6
	v_mov_b32_e32 v19, s8
	global_load_dword v15, v[10:11], off
	v_cndmask_b32_e32 v11, v16, v17, vcc
	v_cndmask_b32_e32 v10, v18, v19, vcc
	v_lshlrev_b32_e32 v8, 2, v8
	v_or_b32_e32 v7, 0x200, v0
	v_lshl_add_u64 v[10:11], v[10:11], 0, v[8:9]
	v_subrev_u32_e32 v8, s33, v7
	v_min_u32_e32 v8, v7, v8
	v_cmp_gt_u32_e32 vcc, s33, v7
	global_load_dword v20, v[10:11], off
	v_lshlrev_b32_e32 v8, 2, v8
	v_cndmask_b32_e32 v11, v16, v17, vcc
	v_cndmask_b32_e32 v10, v18, v19, vcc
	v_lshl_add_u64 v[8:9], v[10:11], 0, v[8:9]
	global_load_dword v11, v[8:9], off
	v_or_b32_e32 v7, 0x300, v0
	v_subrev_u32_e32 v8, s33, v7
	v_cmp_gt_u32_e32 vcc, s33, v7
	v_min_u32_e32 v10, v7, v8
	s_nop 0
	v_cndmask_b32_e32 v9, v16, v17, vcc
	v_cndmask_b32_e32 v8, v18, v19, vcc
	s_mov_b64 s[4:5], -1
	s_waitcnt vmcnt(1)
	ds_write2st64_b32 v6, v15, v20 offset1:4
	s_waitcnt vmcnt(0)
	ds_write_b32 v6, v11 offset:2048
	s_cbranch_execz .LBB8_26
	s_branch .LBB8_41
.LBB8_25:
	s_mov_b64 s[4:5], 0
                                        ; implicit-def: $vgpr7
                                        ; implicit-def: $vgpr8_vgpr9
                                        ; implicit-def: $vgpr10
.LBB8_26:
	s_mov_b64 s[4:5], 0
                                        ; implicit-def: $vgpr8_vgpr9
	s_and_saveexec_b64 s[26:27], s[2:3]
	s_xor_b64 s[2:3], exec, s[26:27]
	s_cbranch_execnz .LBB8_68
; %bb.27:
	s_andn2_saveexec_b64 s[2:3], s[2:3]
	s_cbranch_execnz .LBB8_71
.LBB8_28:
	s_or_b64 exec, exec, s[2:3]
	s_and_saveexec_b64 s[2:3], s[4:5]
	s_cbranch_execz .LBB8_30
.LBB8_29:
	global_load_dword v7, v[8:9], off
	s_waitcnt vmcnt(0)
	ds_write_b32 v6, v7
.LBB8_30:
	s_or_b64 exec, exec, s[2:3]
	v_or_b32_e32 v7, 0x100, v0
	v_cmp_le_u32_e32 vcc, s33, v7
	s_mov_b64 s[2:3], -1
	v_mov_b64_e32 v[8:9], s[22:23]
	s_and_saveexec_b64 s[4:5], vcc
; %bb.31:
	v_subrev_u32_e32 v7, s33, v7
	v_cmp_gt_u32_e32 vcc, s35, v7
	v_mov_b64_e32 v[8:9], s[24:25]
	s_orn2_b64 s[2:3], vcc, exec
; %bb.32:
	s_or_b64 exec, exec, s[4:5]
	s_and_saveexec_b64 s[4:5], s[2:3]
	s_cbranch_execz .LBB8_34
; %bb.33:
	v_lshl_add_u64 v[8:9], v[8:9], 2, s[12:13]
	v_lshlrev_b32_e32 v10, 2, v7
	v_mov_b32_e32 v11, 0
	v_lshl_add_u64 v[8:9], v[8:9], 0, v[10:11]
	global_load_dword v7, v[8:9], off
	s_waitcnt vmcnt(0)
	ds_write_b32 v6, v7 offset:1024
.LBB8_34:
	s_or_b64 exec, exec, s[4:5]
	v_or_b32_e32 v7, 0x200, v0
	v_cmp_le_u32_e32 vcc, s33, v7
	s_mov_b64 s[2:3], -1
	v_mov_b64_e32 v[8:9], s[22:23]
	s_and_saveexec_b64 s[4:5], vcc
; %bb.35:
	v_subrev_u32_e32 v7, s33, v7
	v_cmp_gt_u32_e32 vcc, s35, v7
	v_mov_b64_e32 v[8:9], s[24:25]
	s_orn2_b64 s[2:3], vcc, exec
; %bb.36:
	s_or_b64 exec, exec, s[4:5]
	s_and_saveexec_b64 s[4:5], s[2:3]
	s_cbranch_execz .LBB8_38
; %bb.37:
	v_lshl_add_u64 v[8:9], v[8:9], 2, s[12:13]
	v_lshlrev_b32_e32 v10, 2, v7
	v_mov_b32_e32 v11, 0
	v_lshl_add_u64 v[8:9], v[8:9], 0, v[10:11]
	global_load_dword v7, v[8:9], off
	s_waitcnt vmcnt(0)
	ds_write_b32 v6, v7 offset:2048
.LBB8_38:
	s_or_b64 exec, exec, s[4:5]
	v_or_b32_e32 v7, 0x300, v0
	v_cmp_le_u32_e32 vcc, s33, v7
	s_mov_b64 s[4:5], -1
	v_mov_b64_e32 v[8:9], s[8:9]
	v_mov_b32_e32 v10, v7
	s_and_saveexec_b64 s[2:3], vcc
; %bb.39:
	v_subrev_u32_e32 v10, s33, v7
	v_cmp_gt_u32_e32 vcc, s35, v10
	v_mov_b64_e32 v[8:9], s[6:7]
	s_orn2_b64 s[4:5], vcc, exec
; %bb.40:
	s_or_b64 exec, exec, s[2:3]
.LBB8_41:
	s_and_saveexec_b64 s[2:3], s[4:5]
	s_cbranch_execz .LBB8_43
; %bb.42:
	v_mov_b32_e32 v11, 0
	v_lshl_add_u64 v[8:9], v[10:11], 2, v[8:9]
	global_load_dword v8, v[8:9], off
	v_lshlrev_b32_e32 v7, 2, v7
	s_waitcnt vmcnt(0)
	ds_write_b32 v7, v8
.LBB8_43:
	s_or_b64 exec, exec, s[2:3]
	s_and_b64 vcc, exec, s[0:1]
	v_add_u32_e32 v8, s18, v6
	s_waitcnt lgkmcnt(0)
	s_barrier
	s_cbranch_vccnz .LBB8_45
; %bb.44:
	v_lshlrev_b32_e32 v7, 2, v14
	v_lshlrev_b32_e32 v9, 2, v13
	v_lshlrev_b32_e32 v10, 2, v12
	ds_read_b32 v16, v7
	ds_read_b32 v17, v9
	;; [unrolled: 1-line block ×3, first 2 shown]
	v_mov_b32_e32 v9, 0
	v_lshl_add_u64 v[10:11], v[8:9], 2, s[14:15]
	s_mov_b64 s[0:1], -1
	s_waitcnt lgkmcnt(0)
	global_store_dwordx3 v[10:11], v[16:18], off
	s_cbranch_execz .LBB8_46
	s_branch .LBB8_55
.LBB8_45:
	s_mov_b64 s[0:1], 0
.LBB8_46:
	v_cmp_gt_u32_e32 vcc, s17, v6
	s_and_saveexec_b64 s[2:3], vcc
	s_cbranch_execz .LBB8_48
; %bb.47:
	v_lshlrev_b32_e32 v7, 2, v14
	ds_read_b32 v7, v7
	v_mov_b32_e32 v9, 0
	v_lshl_add_u64 v[10:11], v[8:9], 2, s[14:15]
	s_waitcnt lgkmcnt(0)
	global_store_dword v[10:11], v7, off
.LBB8_48:
	s_or_b64 exec, exec, s[2:3]
	v_or_b32_e32 v7, 1, v6
	v_cmp_gt_u32_e32 vcc, s17, v7
	s_and_saveexec_b64 s[2:3], vcc
	s_cbranch_execz .LBB8_50
; %bb.49:
	v_lshlrev_b32_e32 v7, 2, v13
	ds_read_b32 v7, v7
	v_mov_b32_e32 v9, 0
	v_lshl_add_u64 v[10:11], v[8:9], 2, s[14:15]
	s_waitcnt lgkmcnt(0)
	global_store_dword v[10:11], v7, off offset:4
.LBB8_50:
	s_or_b64 exec, exec, s[2:3]
	v_or_b32_e32 v7, 2, v6
	v_cmp_gt_u32_e32 vcc, s17, v7
	s_and_saveexec_b64 s[2:3], vcc
	s_cbranch_execz .LBB8_52
; %bb.51:
	v_lshlrev_b32_e32 v7, 2, v12
	ds_read_b32 v7, v7
	v_mov_b32_e32 v9, 0
	v_lshl_add_u64 v[10:11], v[8:9], 2, s[14:15]
	s_waitcnt lgkmcnt(0)
	global_store_dword v[10:11], v7, off offset:8
.LBB8_52:
	s_or_b64 exec, exec, s[2:3]
	v_or_b32_e32 v7, 3, v6
	v_cmp_gt_u32_e32 vcc, s17, v7
	s_and_saveexec_b64 s[2:3], vcc
; %bb.53:
	v_mov_b32_e32 v9, 0
	s_or_b64 s[0:1], s[0:1], exec
; %bb.54:
	s_or_b64 exec, exec, s[2:3]
.LBB8_55:
	s_and_saveexec_b64 s[2:3], s[0:1]
	s_cbranch_execz .LBB8_57
; %bb.56:
	v_lshlrev_b32_e32 v1, 2, v1
	ds_read_b32 v1, v1
	v_lshl_add_u64 v[8:9], v[8:9], 2, s[14:15]
	s_waitcnt lgkmcnt(0)
	global_store_dword v[8:9], v1, off offset:12
.LBB8_57:
	s_or_b64 exec, exec, s[2:3]
	v_lshrrev_b32_e32 v1, 3, v0
	v_lshlrev_b32_e32 v7, 2, v6
	v_lshl_add_u32 v7, v1, 2, v7
	s_barrier
	s_barrier
	ds_write2_b32 v7, v2, v3 offset1:1
	ds_write2_b32 v7, v4, v5 offset0:2 offset1:3
	v_and_b32_e32 v1, 28, v1
	v_or_b32_e32 v5, 0x100, v0
	v_add_u32_e32 v8, v1, v6
	v_lshrrev_b32_e32 v1, 3, v5
	v_and_b32_e32 v1, 60, v1
	v_or_b32_e32 v4, 0x200, v0
	v_add_u32_e32 v9, v1, v6
	v_lshrrev_b32_e32 v1, 3, v4
	s_mov_b32 s19, 0
	v_and_b32_e32 v1, 0x5c, v1
	s_lshl_b64 s[0:1], s[18:19], 2
	v_add_u32_e32 v10, v1, v6
	v_or_b32_e32 v1, 0x300, v0
	s_add_u32 s0, s10, s0
	v_lshrrev_b32_e32 v2, 3, v1
	s_addc_u32 s1, s11, s1
	v_and_b32_e32 v2, 0x7c, v2
	v_mov_b32_e32 v7, 0
	v_add_u32_e32 v11, v2, v6
	v_lshl_add_u64 v[2:3], s[0:1], 0, v[6:7]
	s_and_b64 vcc, exec, s[20:21]
	s_waitcnt lgkmcnt(0)
	s_cbranch_vccz .LBB8_59
; %bb.58:
	s_barrier
	ds_read_b32 v6, v8
	ds_read_b32 v7, v9 offset:1024
	ds_read_b32 v13, v10 offset:2048
	;; [unrolled: 1-line block ×3, first 2 shown]
	s_waitcnt lgkmcnt(3)
	global_store_dword v[2:3], v6, off
	s_waitcnt lgkmcnt(2)
	global_store_dword v[2:3], v7, off offset:1024
	s_waitcnt lgkmcnt(1)
	global_store_dword v[2:3], v13, off offset:2048
	s_mov_b64 s[0:1], -1
	s_cbranch_execz .LBB8_60
	s_branch .LBB8_65
.LBB8_59:
	s_mov_b64 s[0:1], 0
                                        ; implicit-def: $vgpr12
.LBB8_60:
	s_barrier
	s_waitcnt lgkmcnt(0)
	ds_read_b32 v7, v9 offset:1024
	ds_read_b32 v6, v10 offset:2048
	;; [unrolled: 1-line block ×3, first 2 shown]
	s_sub_i32 s2, s16, s18
	v_cmp_gt_u32_e32 vcc, s2, v0
	s_and_saveexec_b64 s[0:1], vcc
	s_cbranch_execnz .LBB8_72
; %bb.61:
	s_or_b64 exec, exec, s[0:1]
	v_cmp_gt_u32_e32 vcc, s2, v5
	s_and_saveexec_b64 s[0:1], vcc
	s_cbranch_execnz .LBB8_73
.LBB8_62:
	s_or_b64 exec, exec, s[0:1]
	v_cmp_gt_u32_e32 vcc, s2, v4
	s_and_saveexec_b64 s[0:1], vcc
	s_cbranch_execz .LBB8_64
.LBB8_63:
	s_waitcnt lgkmcnt(1)
	global_store_dword v[2:3], v6, off offset:2048
.LBB8_64:
	s_or_b64 exec, exec, s[0:1]
	v_cmp_gt_u32_e64 s[0:1], s2, v1
.LBB8_65:
	s_and_saveexec_b64 s[2:3], s[0:1]
	s_cbranch_execz .LBB8_67
; %bb.66:
	s_waitcnt lgkmcnt(0)
	global_store_dword v[2:3], v12, off offset:3072
.LBB8_67:
	s_endpgm
.LBB8_68:
	v_subrev_u32_e32 v7, s33, v0
	v_cmp_gt_u32_e32 vcc, s35, v7
                                        ; implicit-def: $vgpr8_vgpr9
	s_and_saveexec_b64 s[26:27], vcc
	s_xor_b64 s[26:27], exec, s[26:27]
; %bb.69:
	v_lshlrev_b32_e32 v8, 2, v7
	v_mov_b32_e32 v9, 0
	s_mov_b64 s[4:5], exec
	v_lshl_add_u64 v[8:9], s[6:7], 0, v[8:9]
; %bb.70:
	s_or_b64 exec, exec, s[26:27]
	s_and_b64 s[4:5], s[4:5], exec
	s_andn2_saveexec_b64 s[2:3], s[2:3]
	s_cbranch_execz .LBB8_28
.LBB8_71:
	v_mov_b32_e32 v7, 0
	v_lshl_add_u64 v[8:9], s[8:9], 0, v[6:7]
	s_or_b64 s[4:5], s[4:5], exec
	s_or_b64 exec, exec, s[2:3]
	s_and_saveexec_b64 s[2:3], s[4:5]
	s_cbranch_execnz .LBB8_29
	s_branch .LBB8_30
.LBB8_72:
	ds_read_b32 v0, v8
	s_waitcnt lgkmcnt(0)
	global_store_dword v[2:3], v0, off
	s_or_b64 exec, exec, s[0:1]
	v_cmp_gt_u32_e32 vcc, s2, v5
	s_and_saveexec_b64 s[0:1], vcc
	s_cbranch_execz .LBB8_62
.LBB8_73:
	s_waitcnt lgkmcnt(2)
	global_store_dword v[2:3], v7, off offset:1024
	s_or_b64 exec, exec, s[0:1]
	v_cmp_gt_u32_e32 vcc, s2, v4
	s_and_saveexec_b64 s[0:1], vcc
	s_cbranch_execnz .LBB8_63
	s_branch .LBB8_64
	.section	.rodata,"a",@progbits
	.p2align	6, 0x0
	.amdhsa_kernel _ZN7rocprim17ROCPRIM_304000_NS6detail35device_block_merge_mergepath_kernelINS1_37wrapped_merge_sort_block_merge_configINS0_14default_configEiN2at4cuda3cub6detail10OpaqueTypeILi4EEEEEPiSC_PSA_SD_jNS1_19radix_merge_compareILb1ELb1EiNS0_19identity_decomposerEEEEEvT0_T1_T2_T3_T4_SL_jT5_PKSL_NS1_7vsmem_tE
		.amdhsa_group_segment_fixed_size 4224
		.amdhsa_private_segment_fixed_size 0
		.amdhsa_kernarg_size 320
		.amdhsa_user_sgpr_count 2
		.amdhsa_user_sgpr_dispatch_ptr 0
		.amdhsa_user_sgpr_queue_ptr 0
		.amdhsa_user_sgpr_kernarg_segment_ptr 1
		.amdhsa_user_sgpr_dispatch_id 0
		.amdhsa_user_sgpr_kernarg_preload_length 0
		.amdhsa_user_sgpr_kernarg_preload_offset 0
		.amdhsa_user_sgpr_private_segment_size 0
		.amdhsa_uses_dynamic_stack 0
		.amdhsa_enable_private_segment 0
		.amdhsa_system_sgpr_workgroup_id_x 1
		.amdhsa_system_sgpr_workgroup_id_y 1
		.amdhsa_system_sgpr_workgroup_id_z 1
		.amdhsa_system_sgpr_workgroup_info 0
		.amdhsa_system_vgpr_workitem_id 0
		.amdhsa_next_free_vgpr 21
		.amdhsa_next_free_sgpr 37
		.amdhsa_accum_offset 24
		.amdhsa_reserve_vcc 1
		.amdhsa_float_round_mode_32 0
		.amdhsa_float_round_mode_16_64 0
		.amdhsa_float_denorm_mode_32 3
		.amdhsa_float_denorm_mode_16_64 3
		.amdhsa_dx10_clamp 1
		.amdhsa_ieee_mode 1
		.amdhsa_fp16_overflow 0
		.amdhsa_tg_split 0
		.amdhsa_exception_fp_ieee_invalid_op 0
		.amdhsa_exception_fp_denorm_src 0
		.amdhsa_exception_fp_ieee_div_zero 0
		.amdhsa_exception_fp_ieee_overflow 0
		.amdhsa_exception_fp_ieee_underflow 0
		.amdhsa_exception_fp_ieee_inexact 0
		.amdhsa_exception_int_div_zero 0
	.end_amdhsa_kernel
	.section	.text._ZN7rocprim17ROCPRIM_304000_NS6detail35device_block_merge_mergepath_kernelINS1_37wrapped_merge_sort_block_merge_configINS0_14default_configEiN2at4cuda3cub6detail10OpaqueTypeILi4EEEEEPiSC_PSA_SD_jNS1_19radix_merge_compareILb1ELb1EiNS0_19identity_decomposerEEEEEvT0_T1_T2_T3_T4_SL_jT5_PKSL_NS1_7vsmem_tE,"axG",@progbits,_ZN7rocprim17ROCPRIM_304000_NS6detail35device_block_merge_mergepath_kernelINS1_37wrapped_merge_sort_block_merge_configINS0_14default_configEiN2at4cuda3cub6detail10OpaqueTypeILi4EEEEEPiSC_PSA_SD_jNS1_19radix_merge_compareILb1ELb1EiNS0_19identity_decomposerEEEEEvT0_T1_T2_T3_T4_SL_jT5_PKSL_NS1_7vsmem_tE,comdat
.Lfunc_end8:
	.size	_ZN7rocprim17ROCPRIM_304000_NS6detail35device_block_merge_mergepath_kernelINS1_37wrapped_merge_sort_block_merge_configINS0_14default_configEiN2at4cuda3cub6detail10OpaqueTypeILi4EEEEEPiSC_PSA_SD_jNS1_19radix_merge_compareILb1ELb1EiNS0_19identity_decomposerEEEEEvT0_T1_T2_T3_T4_SL_jT5_PKSL_NS1_7vsmem_tE, .Lfunc_end8-_ZN7rocprim17ROCPRIM_304000_NS6detail35device_block_merge_mergepath_kernelINS1_37wrapped_merge_sort_block_merge_configINS0_14default_configEiN2at4cuda3cub6detail10OpaqueTypeILi4EEEEEPiSC_PSA_SD_jNS1_19radix_merge_compareILb1ELb1EiNS0_19identity_decomposerEEEEEvT0_T1_T2_T3_T4_SL_jT5_PKSL_NS1_7vsmem_tE
                                        ; -- End function
	.set _ZN7rocprim17ROCPRIM_304000_NS6detail35device_block_merge_mergepath_kernelINS1_37wrapped_merge_sort_block_merge_configINS0_14default_configEiN2at4cuda3cub6detail10OpaqueTypeILi4EEEEEPiSC_PSA_SD_jNS1_19radix_merge_compareILb1ELb1EiNS0_19identity_decomposerEEEEEvT0_T1_T2_T3_T4_SL_jT5_PKSL_NS1_7vsmem_tE.num_vgpr, 21
	.set _ZN7rocprim17ROCPRIM_304000_NS6detail35device_block_merge_mergepath_kernelINS1_37wrapped_merge_sort_block_merge_configINS0_14default_configEiN2at4cuda3cub6detail10OpaqueTypeILi4EEEEEPiSC_PSA_SD_jNS1_19radix_merge_compareILb1ELb1EiNS0_19identity_decomposerEEEEEvT0_T1_T2_T3_T4_SL_jT5_PKSL_NS1_7vsmem_tE.num_agpr, 0
	.set _ZN7rocprim17ROCPRIM_304000_NS6detail35device_block_merge_mergepath_kernelINS1_37wrapped_merge_sort_block_merge_configINS0_14default_configEiN2at4cuda3cub6detail10OpaqueTypeILi4EEEEEPiSC_PSA_SD_jNS1_19radix_merge_compareILb1ELb1EiNS0_19identity_decomposerEEEEEvT0_T1_T2_T3_T4_SL_jT5_PKSL_NS1_7vsmem_tE.numbered_sgpr, 37
	.set _ZN7rocprim17ROCPRIM_304000_NS6detail35device_block_merge_mergepath_kernelINS1_37wrapped_merge_sort_block_merge_configINS0_14default_configEiN2at4cuda3cub6detail10OpaqueTypeILi4EEEEEPiSC_PSA_SD_jNS1_19radix_merge_compareILb1ELb1EiNS0_19identity_decomposerEEEEEvT0_T1_T2_T3_T4_SL_jT5_PKSL_NS1_7vsmem_tE.num_named_barrier, 0
	.set _ZN7rocprim17ROCPRIM_304000_NS6detail35device_block_merge_mergepath_kernelINS1_37wrapped_merge_sort_block_merge_configINS0_14default_configEiN2at4cuda3cub6detail10OpaqueTypeILi4EEEEEPiSC_PSA_SD_jNS1_19radix_merge_compareILb1ELb1EiNS0_19identity_decomposerEEEEEvT0_T1_T2_T3_T4_SL_jT5_PKSL_NS1_7vsmem_tE.private_seg_size, 0
	.set _ZN7rocprim17ROCPRIM_304000_NS6detail35device_block_merge_mergepath_kernelINS1_37wrapped_merge_sort_block_merge_configINS0_14default_configEiN2at4cuda3cub6detail10OpaqueTypeILi4EEEEEPiSC_PSA_SD_jNS1_19radix_merge_compareILb1ELb1EiNS0_19identity_decomposerEEEEEvT0_T1_T2_T3_T4_SL_jT5_PKSL_NS1_7vsmem_tE.uses_vcc, 1
	.set _ZN7rocprim17ROCPRIM_304000_NS6detail35device_block_merge_mergepath_kernelINS1_37wrapped_merge_sort_block_merge_configINS0_14default_configEiN2at4cuda3cub6detail10OpaqueTypeILi4EEEEEPiSC_PSA_SD_jNS1_19radix_merge_compareILb1ELb1EiNS0_19identity_decomposerEEEEEvT0_T1_T2_T3_T4_SL_jT5_PKSL_NS1_7vsmem_tE.uses_flat_scratch, 0
	.set _ZN7rocprim17ROCPRIM_304000_NS6detail35device_block_merge_mergepath_kernelINS1_37wrapped_merge_sort_block_merge_configINS0_14default_configEiN2at4cuda3cub6detail10OpaqueTypeILi4EEEEEPiSC_PSA_SD_jNS1_19radix_merge_compareILb1ELb1EiNS0_19identity_decomposerEEEEEvT0_T1_T2_T3_T4_SL_jT5_PKSL_NS1_7vsmem_tE.has_dyn_sized_stack, 0
	.set _ZN7rocprim17ROCPRIM_304000_NS6detail35device_block_merge_mergepath_kernelINS1_37wrapped_merge_sort_block_merge_configINS0_14default_configEiN2at4cuda3cub6detail10OpaqueTypeILi4EEEEEPiSC_PSA_SD_jNS1_19radix_merge_compareILb1ELb1EiNS0_19identity_decomposerEEEEEvT0_T1_T2_T3_T4_SL_jT5_PKSL_NS1_7vsmem_tE.has_recursion, 0
	.set _ZN7rocprim17ROCPRIM_304000_NS6detail35device_block_merge_mergepath_kernelINS1_37wrapped_merge_sort_block_merge_configINS0_14default_configEiN2at4cuda3cub6detail10OpaqueTypeILi4EEEEEPiSC_PSA_SD_jNS1_19radix_merge_compareILb1ELb1EiNS0_19identity_decomposerEEEEEvT0_T1_T2_T3_T4_SL_jT5_PKSL_NS1_7vsmem_tE.has_indirect_call, 0
	.section	.AMDGPU.csdata,"",@progbits
; Kernel info:
; codeLenInByte = 3020
; TotalNumSgprs: 43
; NumVgprs: 21
; NumAgprs: 0
; TotalNumVgprs: 21
; ScratchSize: 0
; MemoryBound: 0
; FloatMode: 240
; IeeeMode: 1
; LDSByteSize: 4224 bytes/workgroup (compile time only)
; SGPRBlocks: 5
; VGPRBlocks: 2
; NumSGPRsForWavesPerEU: 43
; NumVGPRsForWavesPerEU: 21
; AccumOffset: 24
; Occupancy: 8
; WaveLimiterHint : 1
; COMPUTE_PGM_RSRC2:SCRATCH_EN: 0
; COMPUTE_PGM_RSRC2:USER_SGPR: 2
; COMPUTE_PGM_RSRC2:TRAP_HANDLER: 0
; COMPUTE_PGM_RSRC2:TGID_X_EN: 1
; COMPUTE_PGM_RSRC2:TGID_Y_EN: 1
; COMPUTE_PGM_RSRC2:TGID_Z_EN: 1
; COMPUTE_PGM_RSRC2:TIDIG_COMP_CNT: 0
; COMPUTE_PGM_RSRC3_GFX90A:ACCUM_OFFSET: 5
; COMPUTE_PGM_RSRC3_GFX90A:TG_SPLIT: 0
	.section	.text._ZN7rocprim17ROCPRIM_304000_NS6detail33device_block_merge_oddeven_kernelINS1_37wrapped_merge_sort_block_merge_configINS0_14default_configEiN2at4cuda3cub6detail10OpaqueTypeILi4EEEEEPiSC_PSA_SD_jNS1_19radix_merge_compareILb1ELb1EiNS0_19identity_decomposerEEEEEvT0_T1_T2_T3_T4_SL_T5_,"axG",@progbits,_ZN7rocprim17ROCPRIM_304000_NS6detail33device_block_merge_oddeven_kernelINS1_37wrapped_merge_sort_block_merge_configINS0_14default_configEiN2at4cuda3cub6detail10OpaqueTypeILi4EEEEEPiSC_PSA_SD_jNS1_19radix_merge_compareILb1ELb1EiNS0_19identity_decomposerEEEEEvT0_T1_T2_T3_T4_SL_T5_,comdat
	.protected	_ZN7rocprim17ROCPRIM_304000_NS6detail33device_block_merge_oddeven_kernelINS1_37wrapped_merge_sort_block_merge_configINS0_14default_configEiN2at4cuda3cub6detail10OpaqueTypeILi4EEEEEPiSC_PSA_SD_jNS1_19radix_merge_compareILb1ELb1EiNS0_19identity_decomposerEEEEEvT0_T1_T2_T3_T4_SL_T5_ ; -- Begin function _ZN7rocprim17ROCPRIM_304000_NS6detail33device_block_merge_oddeven_kernelINS1_37wrapped_merge_sort_block_merge_configINS0_14default_configEiN2at4cuda3cub6detail10OpaqueTypeILi4EEEEEPiSC_PSA_SD_jNS1_19radix_merge_compareILb1ELb1EiNS0_19identity_decomposerEEEEEvT0_T1_T2_T3_T4_SL_T5_
	.globl	_ZN7rocprim17ROCPRIM_304000_NS6detail33device_block_merge_oddeven_kernelINS1_37wrapped_merge_sort_block_merge_configINS0_14default_configEiN2at4cuda3cub6detail10OpaqueTypeILi4EEEEEPiSC_PSA_SD_jNS1_19radix_merge_compareILb1ELb1EiNS0_19identity_decomposerEEEEEvT0_T1_T2_T3_T4_SL_T5_
	.p2align	8
	.type	_ZN7rocprim17ROCPRIM_304000_NS6detail33device_block_merge_oddeven_kernelINS1_37wrapped_merge_sort_block_merge_configINS0_14default_configEiN2at4cuda3cub6detail10OpaqueTypeILi4EEEEEPiSC_PSA_SD_jNS1_19radix_merge_compareILb1ELb1EiNS0_19identity_decomposerEEEEEvT0_T1_T2_T3_T4_SL_T5_,@function
_ZN7rocprim17ROCPRIM_304000_NS6detail33device_block_merge_oddeven_kernelINS1_37wrapped_merge_sort_block_merge_configINS0_14default_configEiN2at4cuda3cub6detail10OpaqueTypeILi4EEEEEPiSC_PSA_SD_jNS1_19radix_merge_compareILb1ELb1EiNS0_19identity_decomposerEEEEEvT0_T1_T2_T3_T4_SL_T5_: ; @_ZN7rocprim17ROCPRIM_304000_NS6detail33device_block_merge_oddeven_kernelINS1_37wrapped_merge_sort_block_merge_configINS0_14default_configEiN2at4cuda3cub6detail10OpaqueTypeILi4EEEEEPiSC_PSA_SD_jNS1_19radix_merge_compareILb1ELb1EiNS0_19identity_decomposerEEEEEvT0_T1_T2_T3_T4_SL_T5_
; %bb.0:
	s_load_dwordx4 s[16:19], s[0:1], 0x20
	s_waitcnt lgkmcnt(0)
	s_lshr_b32 s3, s16, 8
	s_cmp_eq_u32 s2, s3
	s_cselect_b64 s[6:7], -1, 0
	s_cmp_lg_u32 s2, s3
	s_cselect_b64 s[8:9], -1, 0
	s_lshl_b32 s20, s2, 8
	s_sub_i32 s3, s16, s20
	v_cmp_gt_u32_e64 s[4:5], s3, v0
	s_or_b64 s[8:9], s[8:9], s[4:5]
	s_and_saveexec_b64 s[10:11], s[8:9]
	s_cbranch_execz .LBB9_24
; %bb.1:
	s_load_dwordx8 s[8:15], s[0:1], 0x0
	s_mov_b32 s21, 0
	s_lshl_b64 s[0:1], s[20:21], 2
	v_lshlrev_b32_e32 v1, 2, v0
	v_add_u32_e32 v0, s20, v0
	s_waitcnt lgkmcnt(0)
	s_add_u32 s22, s8, s0
	s_addc_u32 s23, s9, s1
	s_add_u32 s0, s12, s0
	s_addc_u32 s1, s13, s1
	global_load_dword v2, v1, s[0:1]
	global_load_dword v3, v1, s[22:23]
	s_lshr_b32 s0, s17, 8
	s_sub_i32 s1, 0, s0
	s_and_b32 s1, s2, s1
	s_and_b32 s0, s1, s0
	s_lshl_b32 s19, s1, 8
	s_sub_i32 s12, 0, s17
	s_cmp_eq_u32 s0, 0
	s_cselect_b64 s[0:1], -1, 0
	s_and_b64 s[2:3], s[0:1], exec
	s_cselect_b32 s12, s17, s12
	s_add_i32 s12, s12, s19
	s_mov_b64 s[2:3], -1
	s_cmp_gt_u32 s16, s12
	s_cbranch_scc1 .LBB9_9
; %bb.2:
	s_and_b64 vcc, exec, s[6:7]
	s_cbranch_vccz .LBB9_6
; %bb.3:
	v_cmp_gt_u32_e32 vcc, s16, v0
	s_and_saveexec_b64 s[2:3], vcc
	s_cbranch_execz .LBB9_5
; %bb.4:
	v_mov_b32_e32 v1, 0
	v_lshlrev_b64 v[4:5], 2, v[0:1]
	v_lshl_add_u64 v[6:7], s[14:15], 0, v[4:5]
	v_lshl_add_u64 v[4:5], s[10:11], 0, v[4:5]
	s_waitcnt vmcnt(0)
	global_store_dword v[4:5], v3, off
	global_store_dword v[6:7], v2, off
.LBB9_5:
	s_or_b64 exec, exec, s[2:3]
	s_mov_b64 s[2:3], 0
.LBB9_6:
	s_andn2_b64 vcc, exec, s[2:3]
	s_cbranch_vccnz .LBB9_8
; %bb.7:
	v_mov_b32_e32 v1, 0
	v_lshlrev_b64 v[4:5], 2, v[0:1]
	v_lshl_add_u64 v[6:7], s[10:11], 0, v[4:5]
	v_lshl_add_u64 v[4:5], s[14:15], 0, v[4:5]
	s_waitcnt vmcnt(0)
	global_store_dword v[6:7], v3, off
	global_store_dword v[4:5], v2, off
.LBB9_8:
	s_mov_b64 s[2:3], 0
.LBB9_9:
	s_andn2_b64 vcc, exec, s[2:3]
	s_cbranch_vccnz .LBB9_24
; %bb.10:
	s_min_u32 s13, s12, s16
	s_add_i32 s2, s13, s17
	s_min_u32 s16, s2, s16
	s_min_u32 s2, s19, s13
	s_add_i32 s19, s19, s13
	v_subrev_u32_e32 v0, s19, v0
	v_add_u32_e32 v4, s2, v0
	s_waitcnt vmcnt(0)
	v_and_b32_e32 v5, s18, v3
	s_mov_b64 s[2:3], -1
	s_and_b64 vcc, exec, s[6:7]
	s_cbranch_vccz .LBB9_18
; %bb.11:
	s_and_saveexec_b64 s[2:3], s[4:5]
	s_cbranch_execz .LBB9_17
; %bb.12:
	s_cmp_ge_u32 s12, s16
	v_mov_b32_e32 v6, s13
	s_cbranch_scc1 .LBB9_16
; %bb.13:
	s_mov_b64 s[4:5], 0
	v_mov_b32_e32 v7, s16
	v_mov_b32_e32 v6, s13
	;; [unrolled: 1-line block ×3, first 2 shown]
.LBB9_14:                               ; =>This Inner Loop Header: Depth=1
	v_add_u32_e32 v0, v6, v7
	v_lshrrev_b32_e32 v0, 1, v0
	v_lshl_add_u64 v[8:9], v[0:1], 2, s[8:9]
	global_load_dword v8, v[8:9], off
	v_add_u32_e32 v9, 1, v0
	s_waitcnt vmcnt(0)
	v_and_b32_e32 v8, s18, v8
	v_cmp_gt_i32_e32 vcc, v8, v5
	s_nop 1
	v_cndmask_b32_e64 v10, 0, 1, vcc
	v_cmp_le_i32_e32 vcc, v5, v8
	s_nop 1
	v_cndmask_b32_e64 v8, 0, 1, vcc
	v_cndmask_b32_e64 v8, v8, v10, s[0:1]
	v_and_b32_e32 v8, 1, v8
	v_cmp_eq_u32_e32 vcc, 1, v8
	s_nop 1
	v_cndmask_b32_e32 v7, v0, v7, vcc
	v_cndmask_b32_e32 v6, v6, v9, vcc
	v_cmp_ge_u32_e32 vcc, v6, v7
	s_or_b64 s[4:5], vcc, s[4:5]
	s_andn2_b64 exec, exec, s[4:5]
	s_cbranch_execnz .LBB9_14
; %bb.15:
	s_or_b64 exec, exec, s[4:5]
.LBB9_16:
	v_add_u32_e32 v0, v6, v4
	v_mov_b32_e32 v1, 0
	v_lshlrev_b64 v[0:1], 2, v[0:1]
	v_lshl_add_u64 v[6:7], s[10:11], 0, v[0:1]
	v_lshl_add_u64 v[0:1], s[14:15], 0, v[0:1]
	global_store_dword v[6:7], v3, off
	global_store_dword v[0:1], v2, off
.LBB9_17:
	s_or_b64 exec, exec, s[2:3]
	s_mov_b64 s[2:3], 0
.LBB9_18:
	s_andn2_b64 vcc, exec, s[2:3]
	s_cbranch_vccnz .LBB9_24
; %bb.19:
	s_cmp_ge_u32 s12, s16
	v_mov_b32_e32 v6, s13
	s_cbranch_scc1 .LBB9_23
; %bb.20:
	s_mov_b64 s[2:3], 0
	v_mov_b32_e32 v7, s16
	v_mov_b32_e32 v6, s13
	;; [unrolled: 1-line block ×3, first 2 shown]
.LBB9_21:                               ; =>This Inner Loop Header: Depth=1
	v_add_u32_e32 v0, v6, v7
	v_lshrrev_b32_e32 v0, 1, v0
	v_lshl_add_u64 v[8:9], v[0:1], 2, s[8:9]
	global_load_dword v8, v[8:9], off
	v_add_u32_e32 v9, 1, v0
	s_waitcnt vmcnt(0)
	v_and_b32_e32 v8, s18, v8
	v_cmp_gt_i32_e32 vcc, v8, v5
	s_nop 1
	v_cndmask_b32_e64 v10, 0, 1, vcc
	v_cmp_le_i32_e32 vcc, v5, v8
	s_nop 1
	v_cndmask_b32_e64 v8, 0, 1, vcc
	v_cndmask_b32_e64 v8, v8, v10, s[0:1]
	v_and_b32_e32 v8, 1, v8
	v_cmp_eq_u32_e32 vcc, 1, v8
	s_nop 1
	v_cndmask_b32_e32 v7, v0, v7, vcc
	v_cndmask_b32_e32 v6, v6, v9, vcc
	v_cmp_ge_u32_e32 vcc, v6, v7
	s_or_b64 s[2:3], vcc, s[2:3]
	s_andn2_b64 exec, exec, s[2:3]
	s_cbranch_execnz .LBB9_21
; %bb.22:
	s_or_b64 exec, exec, s[2:3]
.LBB9_23:
	v_add_u32_e32 v0, v6, v4
	v_mov_b32_e32 v1, 0
	v_lshlrev_b64 v[0:1], 2, v[0:1]
	v_lshl_add_u64 v[4:5], s[10:11], 0, v[0:1]
	v_lshl_add_u64 v[0:1], s[14:15], 0, v[0:1]
	global_store_dword v[4:5], v3, off
	global_store_dword v[0:1], v2, off
.LBB9_24:
	s_endpgm
	.section	.rodata,"a",@progbits
	.p2align	6, 0x0
	.amdhsa_kernel _ZN7rocprim17ROCPRIM_304000_NS6detail33device_block_merge_oddeven_kernelINS1_37wrapped_merge_sort_block_merge_configINS0_14default_configEiN2at4cuda3cub6detail10OpaqueTypeILi4EEEEEPiSC_PSA_SD_jNS1_19radix_merge_compareILb1ELb1EiNS0_19identity_decomposerEEEEEvT0_T1_T2_T3_T4_SL_T5_
		.amdhsa_group_segment_fixed_size 0
		.amdhsa_private_segment_fixed_size 0
		.amdhsa_kernarg_size 44
		.amdhsa_user_sgpr_count 2
		.amdhsa_user_sgpr_dispatch_ptr 0
		.amdhsa_user_sgpr_queue_ptr 0
		.amdhsa_user_sgpr_kernarg_segment_ptr 1
		.amdhsa_user_sgpr_dispatch_id 0
		.amdhsa_user_sgpr_kernarg_preload_length 0
		.amdhsa_user_sgpr_kernarg_preload_offset 0
		.amdhsa_user_sgpr_private_segment_size 0
		.amdhsa_uses_dynamic_stack 0
		.amdhsa_enable_private_segment 0
		.amdhsa_system_sgpr_workgroup_id_x 1
		.amdhsa_system_sgpr_workgroup_id_y 0
		.amdhsa_system_sgpr_workgroup_id_z 0
		.amdhsa_system_sgpr_workgroup_info 0
		.amdhsa_system_vgpr_workitem_id 0
		.amdhsa_next_free_vgpr 11
		.amdhsa_next_free_sgpr 24
		.amdhsa_accum_offset 12
		.amdhsa_reserve_vcc 1
		.amdhsa_float_round_mode_32 0
		.amdhsa_float_round_mode_16_64 0
		.amdhsa_float_denorm_mode_32 3
		.amdhsa_float_denorm_mode_16_64 3
		.amdhsa_dx10_clamp 1
		.amdhsa_ieee_mode 1
		.amdhsa_fp16_overflow 0
		.amdhsa_tg_split 0
		.amdhsa_exception_fp_ieee_invalid_op 0
		.amdhsa_exception_fp_denorm_src 0
		.amdhsa_exception_fp_ieee_div_zero 0
		.amdhsa_exception_fp_ieee_overflow 0
		.amdhsa_exception_fp_ieee_underflow 0
		.amdhsa_exception_fp_ieee_inexact 0
		.amdhsa_exception_int_div_zero 0
	.end_amdhsa_kernel
	.section	.text._ZN7rocprim17ROCPRIM_304000_NS6detail33device_block_merge_oddeven_kernelINS1_37wrapped_merge_sort_block_merge_configINS0_14default_configEiN2at4cuda3cub6detail10OpaqueTypeILi4EEEEEPiSC_PSA_SD_jNS1_19radix_merge_compareILb1ELb1EiNS0_19identity_decomposerEEEEEvT0_T1_T2_T3_T4_SL_T5_,"axG",@progbits,_ZN7rocprim17ROCPRIM_304000_NS6detail33device_block_merge_oddeven_kernelINS1_37wrapped_merge_sort_block_merge_configINS0_14default_configEiN2at4cuda3cub6detail10OpaqueTypeILi4EEEEEPiSC_PSA_SD_jNS1_19radix_merge_compareILb1ELb1EiNS0_19identity_decomposerEEEEEvT0_T1_T2_T3_T4_SL_T5_,comdat
.Lfunc_end9:
	.size	_ZN7rocprim17ROCPRIM_304000_NS6detail33device_block_merge_oddeven_kernelINS1_37wrapped_merge_sort_block_merge_configINS0_14default_configEiN2at4cuda3cub6detail10OpaqueTypeILi4EEEEEPiSC_PSA_SD_jNS1_19radix_merge_compareILb1ELb1EiNS0_19identity_decomposerEEEEEvT0_T1_T2_T3_T4_SL_T5_, .Lfunc_end9-_ZN7rocprim17ROCPRIM_304000_NS6detail33device_block_merge_oddeven_kernelINS1_37wrapped_merge_sort_block_merge_configINS0_14default_configEiN2at4cuda3cub6detail10OpaqueTypeILi4EEEEEPiSC_PSA_SD_jNS1_19radix_merge_compareILb1ELb1EiNS0_19identity_decomposerEEEEEvT0_T1_T2_T3_T4_SL_T5_
                                        ; -- End function
	.set _ZN7rocprim17ROCPRIM_304000_NS6detail33device_block_merge_oddeven_kernelINS1_37wrapped_merge_sort_block_merge_configINS0_14default_configEiN2at4cuda3cub6detail10OpaqueTypeILi4EEEEEPiSC_PSA_SD_jNS1_19radix_merge_compareILb1ELb1EiNS0_19identity_decomposerEEEEEvT0_T1_T2_T3_T4_SL_T5_.num_vgpr, 11
	.set _ZN7rocprim17ROCPRIM_304000_NS6detail33device_block_merge_oddeven_kernelINS1_37wrapped_merge_sort_block_merge_configINS0_14default_configEiN2at4cuda3cub6detail10OpaqueTypeILi4EEEEEPiSC_PSA_SD_jNS1_19radix_merge_compareILb1ELb1EiNS0_19identity_decomposerEEEEEvT0_T1_T2_T3_T4_SL_T5_.num_agpr, 0
	.set _ZN7rocprim17ROCPRIM_304000_NS6detail33device_block_merge_oddeven_kernelINS1_37wrapped_merge_sort_block_merge_configINS0_14default_configEiN2at4cuda3cub6detail10OpaqueTypeILi4EEEEEPiSC_PSA_SD_jNS1_19radix_merge_compareILb1ELb1EiNS0_19identity_decomposerEEEEEvT0_T1_T2_T3_T4_SL_T5_.numbered_sgpr, 24
	.set _ZN7rocprim17ROCPRIM_304000_NS6detail33device_block_merge_oddeven_kernelINS1_37wrapped_merge_sort_block_merge_configINS0_14default_configEiN2at4cuda3cub6detail10OpaqueTypeILi4EEEEEPiSC_PSA_SD_jNS1_19radix_merge_compareILb1ELb1EiNS0_19identity_decomposerEEEEEvT0_T1_T2_T3_T4_SL_T5_.num_named_barrier, 0
	.set _ZN7rocprim17ROCPRIM_304000_NS6detail33device_block_merge_oddeven_kernelINS1_37wrapped_merge_sort_block_merge_configINS0_14default_configEiN2at4cuda3cub6detail10OpaqueTypeILi4EEEEEPiSC_PSA_SD_jNS1_19radix_merge_compareILb1ELb1EiNS0_19identity_decomposerEEEEEvT0_T1_T2_T3_T4_SL_T5_.private_seg_size, 0
	.set _ZN7rocprim17ROCPRIM_304000_NS6detail33device_block_merge_oddeven_kernelINS1_37wrapped_merge_sort_block_merge_configINS0_14default_configEiN2at4cuda3cub6detail10OpaqueTypeILi4EEEEEPiSC_PSA_SD_jNS1_19radix_merge_compareILb1ELb1EiNS0_19identity_decomposerEEEEEvT0_T1_T2_T3_T4_SL_T5_.uses_vcc, 1
	.set _ZN7rocprim17ROCPRIM_304000_NS6detail33device_block_merge_oddeven_kernelINS1_37wrapped_merge_sort_block_merge_configINS0_14default_configEiN2at4cuda3cub6detail10OpaqueTypeILi4EEEEEPiSC_PSA_SD_jNS1_19radix_merge_compareILb1ELb1EiNS0_19identity_decomposerEEEEEvT0_T1_T2_T3_T4_SL_T5_.uses_flat_scratch, 0
	.set _ZN7rocprim17ROCPRIM_304000_NS6detail33device_block_merge_oddeven_kernelINS1_37wrapped_merge_sort_block_merge_configINS0_14default_configEiN2at4cuda3cub6detail10OpaqueTypeILi4EEEEEPiSC_PSA_SD_jNS1_19radix_merge_compareILb1ELb1EiNS0_19identity_decomposerEEEEEvT0_T1_T2_T3_T4_SL_T5_.has_dyn_sized_stack, 0
	.set _ZN7rocprim17ROCPRIM_304000_NS6detail33device_block_merge_oddeven_kernelINS1_37wrapped_merge_sort_block_merge_configINS0_14default_configEiN2at4cuda3cub6detail10OpaqueTypeILi4EEEEEPiSC_PSA_SD_jNS1_19radix_merge_compareILb1ELb1EiNS0_19identity_decomposerEEEEEvT0_T1_T2_T3_T4_SL_T5_.has_recursion, 0
	.set _ZN7rocprim17ROCPRIM_304000_NS6detail33device_block_merge_oddeven_kernelINS1_37wrapped_merge_sort_block_merge_configINS0_14default_configEiN2at4cuda3cub6detail10OpaqueTypeILi4EEEEEPiSC_PSA_SD_jNS1_19radix_merge_compareILb1ELb1EiNS0_19identity_decomposerEEEEEvT0_T1_T2_T3_T4_SL_T5_.has_indirect_call, 0
	.section	.AMDGPU.csdata,"",@progbits
; Kernel info:
; codeLenInByte = 780
; TotalNumSgprs: 30
; NumVgprs: 11
; NumAgprs: 0
; TotalNumVgprs: 11
; ScratchSize: 0
; MemoryBound: 0
; FloatMode: 240
; IeeeMode: 1
; LDSByteSize: 0 bytes/workgroup (compile time only)
; SGPRBlocks: 3
; VGPRBlocks: 1
; NumSGPRsForWavesPerEU: 30
; NumVGPRsForWavesPerEU: 11
; AccumOffset: 12
; Occupancy: 8
; WaveLimiterHint : 0
; COMPUTE_PGM_RSRC2:SCRATCH_EN: 0
; COMPUTE_PGM_RSRC2:USER_SGPR: 2
; COMPUTE_PGM_RSRC2:TRAP_HANDLER: 0
; COMPUTE_PGM_RSRC2:TGID_X_EN: 1
; COMPUTE_PGM_RSRC2:TGID_Y_EN: 0
; COMPUTE_PGM_RSRC2:TGID_Z_EN: 0
; COMPUTE_PGM_RSRC2:TIDIG_COMP_CNT: 0
; COMPUTE_PGM_RSRC3_GFX90A:ACCUM_OFFSET: 2
; COMPUTE_PGM_RSRC3_GFX90A:TG_SPLIT: 0
	.section	.text._ZN7rocprim17ROCPRIM_304000_NS6detail26onesweep_histograms_kernelINS1_34wrapped_radix_sort_onesweep_configINS0_14default_configEiN2at4cuda3cub6detail10OpaqueTypeILi4EEEEELb1EPKimNS0_19identity_decomposerEEEvT1_PT2_SG_SG_T3_jj,"axG",@progbits,_ZN7rocprim17ROCPRIM_304000_NS6detail26onesweep_histograms_kernelINS1_34wrapped_radix_sort_onesweep_configINS0_14default_configEiN2at4cuda3cub6detail10OpaqueTypeILi4EEEEELb1EPKimNS0_19identity_decomposerEEEvT1_PT2_SG_SG_T3_jj,comdat
	.protected	_ZN7rocprim17ROCPRIM_304000_NS6detail26onesweep_histograms_kernelINS1_34wrapped_radix_sort_onesweep_configINS0_14default_configEiN2at4cuda3cub6detail10OpaqueTypeILi4EEEEELb1EPKimNS0_19identity_decomposerEEEvT1_PT2_SG_SG_T3_jj ; -- Begin function _ZN7rocprim17ROCPRIM_304000_NS6detail26onesweep_histograms_kernelINS1_34wrapped_radix_sort_onesweep_configINS0_14default_configEiN2at4cuda3cub6detail10OpaqueTypeILi4EEEEELb1EPKimNS0_19identity_decomposerEEEvT1_PT2_SG_SG_T3_jj
	.globl	_ZN7rocprim17ROCPRIM_304000_NS6detail26onesweep_histograms_kernelINS1_34wrapped_radix_sort_onesweep_configINS0_14default_configEiN2at4cuda3cub6detail10OpaqueTypeILi4EEEEELb1EPKimNS0_19identity_decomposerEEEvT1_PT2_SG_SG_T3_jj
	.p2align	8
	.type	_ZN7rocprim17ROCPRIM_304000_NS6detail26onesweep_histograms_kernelINS1_34wrapped_radix_sort_onesweep_configINS0_14default_configEiN2at4cuda3cub6detail10OpaqueTypeILi4EEEEELb1EPKimNS0_19identity_decomposerEEEvT1_PT2_SG_SG_T3_jj,@function
_ZN7rocprim17ROCPRIM_304000_NS6detail26onesweep_histograms_kernelINS1_34wrapped_radix_sort_onesweep_configINS0_14default_configEiN2at4cuda3cub6detail10OpaqueTypeILi4EEEEELb1EPKimNS0_19identity_decomposerEEEvT1_PT2_SG_SG_T3_jj: ; @_ZN7rocprim17ROCPRIM_304000_NS6detail26onesweep_histograms_kernelINS1_34wrapped_radix_sort_onesweep_configINS0_14default_configEiN2at4cuda3cub6detail10OpaqueTypeILi4EEEEELb1EPKimNS0_19identity_decomposerEEEvT1_PT2_SG_SG_T3_jj
; %bb.0:
	s_load_dwordx8 s[24:31], s[0:1], 0x0
	s_load_dwordx2 s[34:35], s[0:1], 0x24
	v_mov_b32_e32 v2, s2
	s_mul_hi_u32 s1, s2, 0x6000
	s_mulk_i32 s2, 0x6000
	v_mov_b32_e32 v3, 0
	s_waitcnt lgkmcnt(0)
	s_add_u32 s0, s24, s2
	v_cmp_le_u64_e32 vcc, s[30:31], v[2:3]
	s_addc_u32 s1, s25, s1
	v_lshlrev_b32_e32 v2, 2, v0
	v_and_b32_e32 v8, 3, v0
	v_lshl_add_u64 v[4:5], s[0:1], 0, v[2:3]
	s_mov_b64 s[0:1], -1
	s_cbranch_vccz .LBB10_87
; %bb.1:
	s_mul_i32 s24, s30, 0xffffe800
	s_add_i32 s24, s24, s28
	v_cmp_gt_u32_e64 s[22:23], s24, v0
                                        ; implicit-def: $vgpr18
	s_and_saveexec_b64 s[0:1], s[22:23]
	s_cbranch_execz .LBB10_3
; %bb.2:
	global_load_dword v1, v[4:5], off
	s_waitcnt vmcnt(0)
	v_xor_b32_e32 v18, 0x7fffffff, v1
.LBB10_3:
	s_or_b64 exec, exec, s[0:1]
	v_or_b32_e32 v1, 0x200, v0
	v_cmp_gt_u32_e64 s[20:21], s24, v1
                                        ; implicit-def: $vgpr17
	s_and_saveexec_b64 s[0:1], s[20:21]
	s_cbranch_execz .LBB10_5
; %bb.4:
	global_load_dword v1, v[4:5], off offset:2048
	s_waitcnt vmcnt(0)
	v_xor_b32_e32 v17, 0x7fffffff, v1
.LBB10_5:
	s_or_b64 exec, exec, s[0:1]
	v_or_b32_e32 v1, 0x400, v0
	v_cmp_gt_u32_e64 s[18:19], s24, v1
                                        ; implicit-def: $vgpr16
	s_and_saveexec_b64 s[0:1], s[18:19]
	s_cbranch_execz .LBB10_7
; %bb.6:
	v_add_co_u32_e32 v6, vcc, 0x1000, v4
	s_nop 1
	v_addc_co_u32_e32 v7, vcc, 0, v5, vcc
	global_load_dword v1, v[6:7], off
	s_waitcnt vmcnt(0)
	v_xor_b32_e32 v16, 0x7fffffff, v1
.LBB10_7:
	s_or_b64 exec, exec, s[0:1]
	v_or_b32_e32 v1, 0x600, v0
	v_cmp_gt_u32_e64 s[16:17], s24, v1
                                        ; implicit-def: $vgpr15
	s_and_saveexec_b64 s[0:1], s[16:17]
	s_cbranch_execz .LBB10_9
; %bb.8:
	v_add_co_u32_e32 v6, vcc, 0x1000, v4
	s_nop 1
	v_addc_co_u32_e32 v7, vcc, 0, v5, vcc
	global_load_dword v1, v[6:7], off offset:2048
	s_waitcnt vmcnt(0)
	v_xor_b32_e32 v15, 0x7fffffff, v1
.LBB10_9:
	s_or_b64 exec, exec, s[0:1]
	v_or_b32_e32 v1, 0x800, v0
	v_cmp_gt_u32_e64 s[14:15], s24, v1
                                        ; implicit-def: $vgpr14
	s_and_saveexec_b64 s[0:1], s[14:15]
	s_cbranch_execz .LBB10_11
; %bb.10:
	v_add_co_u32_e32 v6, vcc, 0x2000, v4
	s_nop 1
	v_addc_co_u32_e32 v7, vcc, 0, v5, vcc
	global_load_dword v1, v[6:7], off
	s_waitcnt vmcnt(0)
	v_xor_b32_e32 v14, 0x7fffffff, v1
.LBB10_11:
	s_or_b64 exec, exec, s[0:1]
	v_or_b32_e32 v1, 0xa00, v0
	v_cmp_gt_u32_e64 s[12:13], s24, v1
                                        ; implicit-def: $vgpr13
	s_and_saveexec_b64 s[0:1], s[12:13]
	s_cbranch_execz .LBB10_13
; %bb.12:
	v_add_co_u32_e32 v6, vcc, 0x2000, v4
	s_nop 1
	v_addc_co_u32_e32 v7, vcc, 0, v5, vcc
	global_load_dword v1, v[6:7], off offset:2048
	s_waitcnt vmcnt(0)
	v_xor_b32_e32 v13, 0x7fffffff, v1
.LBB10_13:
	s_or_b64 exec, exec, s[0:1]
	v_or_b32_e32 v1, 0xc00, v0
	v_cmp_gt_u32_e64 s[10:11], s24, v1
                                        ; implicit-def: $vgpr12
	s_and_saveexec_b64 s[0:1], s[10:11]
	s_cbranch_execz .LBB10_15
; %bb.14:
	v_add_co_u32_e32 v6, vcc, 0x3000, v4
	s_nop 1
	v_addc_co_u32_e32 v7, vcc, 0, v5, vcc
	global_load_dword v1, v[6:7], off
	s_waitcnt vmcnt(0)
	v_xor_b32_e32 v12, 0x7fffffff, v1
.LBB10_15:
	s_or_b64 exec, exec, s[0:1]
	v_or_b32_e32 v1, 0xe00, v0
	v_cmp_gt_u32_e64 s[8:9], s24, v1
                                        ; implicit-def: $vgpr11
	s_and_saveexec_b64 s[0:1], s[8:9]
	s_cbranch_execz .LBB10_17
; %bb.16:
	v_add_co_u32_e32 v6, vcc, 0x3000, v4
	s_nop 1
	v_addc_co_u32_e32 v7, vcc, 0, v5, vcc
	global_load_dword v1, v[6:7], off offset:2048
	s_waitcnt vmcnt(0)
	v_xor_b32_e32 v11, 0x7fffffff, v1
.LBB10_17:
	s_or_b64 exec, exec, s[0:1]
	v_or_b32_e32 v1, 0x1000, v0
	v_cmp_gt_u32_e64 s[6:7], s24, v1
                                        ; implicit-def: $vgpr10
	s_and_saveexec_b64 s[0:1], s[6:7]
	s_cbranch_execz .LBB10_19
; %bb.18:
	v_add_co_u32_e32 v6, vcc, 0x4000, v4
	s_nop 1
	v_addc_co_u32_e32 v7, vcc, 0, v5, vcc
	global_load_dword v1, v[6:7], off
	s_waitcnt vmcnt(0)
	v_xor_b32_e32 v10, 0x7fffffff, v1
.LBB10_19:
	s_or_b64 exec, exec, s[0:1]
	v_or_b32_e32 v1, 0x1200, v0
	v_cmp_gt_u32_e64 s[4:5], s24, v1
                                        ; implicit-def: $vgpr9
	s_and_saveexec_b64 s[0:1], s[4:5]
	s_cbranch_execz .LBB10_21
; %bb.20:
	v_add_co_u32_e32 v6, vcc, 0x4000, v4
	s_nop 1
	v_addc_co_u32_e32 v7, vcc, 0, v5, vcc
	global_load_dword v1, v[6:7], off offset:2048
	s_waitcnt vmcnt(0)
	v_xor_b32_e32 v9, 0x7fffffff, v1
.LBB10_21:
	s_or_b64 exec, exec, s[0:1]
	v_or_b32_e32 v1, 0x1400, v0
	v_cmp_gt_u32_e64 s[2:3], s24, v1
                                        ; implicit-def: $vgpr7
	s_and_saveexec_b64 s[0:1], s[2:3]
	s_cbranch_execz .LBB10_23
; %bb.22:
	v_add_co_u32_e32 v6, vcc, 0x5000, v4
	s_nop 1
	v_addc_co_u32_e32 v7, vcc, 0, v5, vcc
	global_load_dword v1, v[6:7], off
	s_waitcnt vmcnt(0)
	v_xor_b32_e32 v7, 0x7fffffff, v1
.LBB10_23:
	s_or_b64 exec, exec, s[0:1]
	v_or_b32_e32 v1, 0x1600, v0
	v_cmp_gt_u32_e64 s[0:1], s24, v1
                                        ; implicit-def: $vgpr3
	s_and_saveexec_b64 s[24:25], s[0:1]
	s_cbranch_execz .LBB10_25
; %bb.24:
	v_add_co_u32_e32 v20, vcc, 0x5000, v4
	s_nop 1
	v_addc_co_u32_e32 v21, vcc, 0, v5, vcc
	global_load_dword v1, v[20:21], off offset:2048
	s_waitcnt vmcnt(0)
	v_xor_b32_e32 v3, 0x7fffffff, v1
.LBB10_25:
	s_or_b64 exec, exec, s[24:25]
	s_movk_i32 s24, 0x380
	v_cmp_gt_u32_e32 vcc, s24, v0
	s_and_saveexec_b64 s[28:29], vcc
	s_cbranch_execz .LBB10_32
; %bb.26:
	s_movk_i32 s24, 0x180
	v_sub_u32_e64 v1, s24, v0 clamp
	v_add_u32_e32 v1, 0x1ff, v1
	v_lshrrev_b32_e32 v6, 9, v1
	s_mov_b32 s30, 0
	v_mov_b32_e32 v1, v6
	v_lshlrev_b32_e32 v19, 2, v0
	s_mov_b32 s31, 1
	s_mov_b64 s[36:37], 0
	v_mov_b32_e32 v20, 0
	s_mov_b32 s38, s30
	s_branch .LBB10_28
.LBB10_27:                              ;   in Loop: Header=BB10_28 Depth=1
	s_or_b64 exec, exec, s[24:25]
	s_add_i32 s38, s38, 2
	v_cmp_eq_u32_e64 s[24:25], 2, s38
	s_or_b64 s[36:37], s[24:25], s[36:37]
	v_add_u32_e32 v19, 0x1000, v19
	s_andn2_b64 exec, exec, s[36:37]
	s_cbranch_execz .LBB10_32
.LBB10_28:                              ; =>This Inner Loop Header: Depth=1
	s_mov_b32 s39, s38
	s_or_b64 s[24:25], s[38:39], s[30:31]
	v_cmp_le_u32_e32 vcc, s25, v1
	v_cmp_le_u32_e64 s[24:25], s24, v6
	s_and_saveexec_b64 s[40:41], s[24:25]
; %bb.29:                               ;   in Loop: Header=BB10_28 Depth=1
	ds_write_b32 v19, v20
; %bb.30:                               ;   in Loop: Header=BB10_28 Depth=1
	s_or_b64 exec, exec, s[40:41]
	s_and_saveexec_b64 s[24:25], vcc
	s_cbranch_execz .LBB10_27
; %bb.31:                               ;   in Loop: Header=BB10_28 Depth=1
	ds_write_b32 v19, v20 offset:2048
	s_branch .LBB10_27
.LBB10_32:
	s_or_b64 exec, exec, s[28:29]
	s_cmp_gt_u32 s35, s34
	s_cselect_b64 s[24:25], -1, 0
	s_cmp_le_u32 s35, s34
	s_waitcnt lgkmcnt(0)
	s_barrier
	s_cbranch_scc1 .LBB10_81
; %bb.33:
	v_lshlrev_b32_e32 v1, 2, v8
	s_sub_i32 s30, s35, s34
	v_mov_b32_e32 v6, 1
	s_mov_b32 s31, s30
	v_mov_b32_e32 v19, v1
	s_mov_b32 s33, s34
	s_branch .LBB10_35
.LBB10_34:                              ;   in Loop: Header=BB10_35 Depth=1
	s_or_b64 exec, exec, s[28:29]
	s_add_i32 s33, s33, 5
	s_add_i32 s31, s31, -5
	s_cmp_lt_u32 s33, s35
	v_add_u32_e32 v19, 0x200, v19
	s_cbranch_scc0 .LBB10_37
.LBB10_35:                              ; =>This Inner Loop Header: Depth=1
	s_and_saveexec_b64 s[28:29], s[22:23]
	s_cbranch_execz .LBB10_34
; %bb.36:                               ;   in Loop: Header=BB10_35 Depth=1
	s_min_u32 s36, s31, 5
	v_lshrrev_b32_e32 v20, s33, v18
	v_bfe_u32 v20, v20, 0, s36
	v_lshl_add_u32 v20, v20, 4, v19
	ds_add_u32 v20, v6
	s_branch .LBB10_34
.LBB10_37:
	v_mov_b32_e32 v6, 1
	s_mov_b32 s28, s30
	v_mov_b32_e32 v18, v1
	s_mov_b32 s29, s34
	s_branch .LBB10_39
.LBB10_38:                              ;   in Loop: Header=BB10_39 Depth=1
	s_or_b64 exec, exec, s[22:23]
	s_add_i32 s29, s29, 5
	s_add_i32 s28, s28, -5
	s_cmp_lt_u32 s29, s35
	v_add_u32_e32 v18, 0x200, v18
	s_cbranch_scc0 .LBB10_41
.LBB10_39:                              ; =>This Inner Loop Header: Depth=1
	s_and_saveexec_b64 s[22:23], s[20:21]
	s_cbranch_execz .LBB10_38
; %bb.40:                               ;   in Loop: Header=BB10_39 Depth=1
	s_min_u32 s31, s28, 5
	v_lshrrev_b32_e32 v19, s29, v17
	v_bfe_u32 v19, v19, 0, s31
	v_lshl_add_u32 v19, v19, 4, v18
	ds_add_u32 v19, v6
	s_branch .LBB10_38
.LBB10_41:
	;; [unrolled: 23-line block ×11, first 2 shown]
	v_mov_b32_e32 v6, 1
	s_mov_b32 s4, s34
	s_branch .LBB10_79
.LBB10_78:                              ;   in Loop: Header=BB10_79 Depth=1
	s_or_b64 exec, exec, s[2:3]
	s_add_i32 s4, s4, 5
	s_add_i32 s30, s30, -5
	s_cmp_lt_u32 s4, s35
	v_add_u32_e32 v1, 0x200, v1
	s_cbranch_scc0 .LBB10_81
.LBB10_79:                              ; =>This Inner Loop Header: Depth=1
	s_and_saveexec_b64 s[2:3], s[0:1]
	s_cbranch_execz .LBB10_78
; %bb.80:                               ;   in Loop: Header=BB10_79 Depth=1
	s_min_u32 s5, s30, 5
	v_lshrrev_b32_e32 v7, s4, v3
	v_bfe_u32 v7, v7, 0, s5
	v_lshl_add_u32 v7, v7, 4, v1
	ds_add_u32 v7, v6
	s_branch .LBB10_78
.LBB10_81:
	s_and_b64 vcc, exec, s[24:25]
	s_waitcnt lgkmcnt(0)
	s_barrier
	s_cbranch_vccz .LBB10_86
; %bb.82:
	v_cmp_gt_u32_e32 vcc, 32, v0
	v_lshlrev_b32_e32 v1, 4, v0
	v_mov_b32_e32 v7, 0
	v_mov_b32_e32 v6, v0
	s_mov_b32 s2, s34
	s_branch .LBB10_84
.LBB10_83:                              ;   in Loop: Header=BB10_84 Depth=1
	s_or_b64 exec, exec, s[0:1]
	s_add_i32 s2, s2, 5
	v_add_u32_e32 v6, 32, v6
	s_cmp_lt_u32 s2, s35
	v_add_u32_e32 v1, 0x200, v1
	s_cbranch_scc0 .LBB10_86
.LBB10_84:                              ; =>This Inner Loop Header: Depth=1
	s_and_saveexec_b64 s[0:1], vcc
	s_cbranch_execz .LBB10_83
; %bb.85:                               ;   in Loop: Header=BB10_84 Depth=1
	ds_read2_b32 v[10:11], v1 offset1:1
	ds_read2_b32 v[12:13], v1 offset0:2 offset1:3
	v_lshl_add_u64 v[14:15], v[6:7], 3, s[26:27]
	s_waitcnt lgkmcnt(1)
	v_add_u32_e32 v3, v11, v10
	s_waitcnt lgkmcnt(0)
	v_add3_u32 v10, v3, v12, v13
	v_mov_b32_e32 v11, v7
	global_atomic_add_x2 v[14:15], v[10:11], off
	s_branch .LBB10_83
.LBB10_86:
	s_mov_b64 s[0:1], 0
.LBB10_87:
	s_and_b64 vcc, exec, s[0:1]
	s_cbranch_vccz .LBB10_137
; %bb.88:
	v_add_co_u32_e32 v14, vcc, 0x1000, v4
	s_cmp_lg_u32 s34, 0
	s_nop 0
	v_addc_co_u32_e32 v15, vcc, 0, v5, vcc
	v_add_co_u32_e32 v16, vcc, 0x2000, v4
	s_cselect_b64 s[0:1], -1, 0
	s_nop 0
	v_addc_co_u32_e32 v17, vcc, 0, v5, vcc
	v_add_co_u32_e32 v18, vcc, 0x3000, v4
	s_cmp_lg_u32 s35, 32
	s_nop 0
	v_addc_co_u32_e32 v19, vcc, 0, v5, vcc
	global_load_dword v3, v[4:5], off
	global_load_dword v6, v[4:5], off offset:2048
	global_load_dword v7, v[14:15], off
	global_load_dword v9, v[14:15], off offset:2048
	;; [unrolled: 2-line block ×4, first 2 shown]
	v_add_co_u32_e32 v18, vcc, 0x4000, v4
	s_cselect_b64 s[2:3], -1, 0
	s_nop 0
	v_addc_co_u32_e32 v19, vcc, 0, v5, vcc
	v_add_co_u32_e32 v4, vcc, 0x5000, v4
	s_or_b64 s[4:5], s[0:1], s[2:3]
	s_nop 0
	v_addc_co_u32_e32 v5, vcc, 0, v5, vcc
	global_load_dword v14, v[18:19], off
	global_load_dword v15, v[18:19], off offset:2048
	global_load_dword v16, v[4:5], off
	global_load_dword v17, v[4:5], off offset:2048
	s_movk_i32 s0, 0x380
	v_cmp_gt_u32_e64 s[0:1], s0, v0
	s_mov_b64 s[2:3], -1
	s_and_b64 vcc, exec, s[4:5]
	s_cbranch_vccz .LBB10_127
; %bb.89:
	s_and_saveexec_b64 s[4:5], s[0:1]
	s_cbranch_execz .LBB10_96
; %bb.90:
	s_movk_i32 s2, 0x180
	v_sub_u32_e64 v1, s2, v0 clamp
	v_add_u32_e32 v1, 0x1ff, v1
	v_lshrrev_b32_e32 v4, 9, v1
	s_mov_b32 s6, 0
	v_mov_b32_e32 v1, v4
	v_lshlrev_b32_e32 v5, 2, v0
	s_mov_b32 s7, 1
	s_mov_b64 s[8:9], 0
	v_mov_b32_e32 v18, 0
	s_mov_b32 s10, s6
	s_branch .LBB10_92
.LBB10_91:                              ;   in Loop: Header=BB10_92 Depth=1
	s_or_b64 exec, exec, s[2:3]
	s_add_i32 s10, s10, 2
	v_cmp_eq_u32_e64 s[2:3], 2, s10
	s_or_b64 s[8:9], s[2:3], s[8:9]
	v_add_u32_e32 v5, 0x1000, v5
	s_andn2_b64 exec, exec, s[8:9]
	s_cbranch_execz .LBB10_96
.LBB10_92:                              ; =>This Inner Loop Header: Depth=1
	s_mov_b32 s11, s10
	s_or_b64 s[2:3], s[10:11], s[6:7]
	v_cmp_le_u32_e32 vcc, s3, v1
	v_cmp_le_u32_e64 s[2:3], s2, v4
	s_and_saveexec_b64 s[12:13], s[2:3]
; %bb.93:                               ;   in Loop: Header=BB10_92 Depth=1
	ds_write_b32 v5, v18
; %bb.94:                               ;   in Loop: Header=BB10_92 Depth=1
	s_or_b64 exec, exec, s[12:13]
	s_and_saveexec_b64 s[2:3], vcc
	s_cbranch_execz .LBB10_91
; %bb.95:                               ;   in Loop: Header=BB10_92 Depth=1
	ds_write_b32 v5, v18 offset:2048
	s_branch .LBB10_91
.LBB10_96:
	s_or_b64 exec, exec, s[4:5]
	s_cmp_gt_u32 s35, s34
	s_cselect_b64 s[2:3], -1, 0
	s_cmp_le_u32 s35, s34
	s_waitcnt lgkmcnt(0)
	s_barrier
	s_cbranch_scc1 .LBB10_121
; %bb.97:
	v_lshlrev_b32_e32 v1, 2, v8
	s_sub_i32 s4, s35, s34
	s_waitcnt vmcnt(11)
	v_xor_b32_e32 v4, 0x7fffffff, v3
	v_mov_b32_e32 v5, 1
	s_mov_b32 s5, s4
	v_mov_b32_e32 v18, v1
	s_mov_b32 s6, s34
.LBB10_98:                              ; =>This Inner Loop Header: Depth=1
	s_min_u32 s7, s5, 5
	v_lshrrev_b32_e32 v19, s6, v4
	v_bfe_u32 v19, v19, 0, s7
	v_lshl_add_u32 v19, v19, 4, v18
	ds_add_u32 v19, v5
	s_add_i32 s6, s6, 5
	s_add_i32 s5, s5, -5
	s_cmp_lt_u32 s6, s35
	v_add_u32_e32 v18, 0x200, v18
	s_cbranch_scc1 .LBB10_98
; %bb.99:
	s_waitcnt vmcnt(10)
	v_xor_b32_e32 v4, 0x7fffffff, v6
	v_mov_b32_e32 v5, 1
	s_mov_b32 s5, s4
	v_mov_b32_e32 v18, v1
	s_mov_b32 s6, s34
.LBB10_100:                             ; =>This Inner Loop Header: Depth=1
	s_min_u32 s7, s5, 5
	v_lshrrev_b32_e32 v19, s6, v4
	v_bfe_u32 v19, v19, 0, s7
	v_lshl_add_u32 v19, v19, 4, v18
	ds_add_u32 v19, v5
	s_add_i32 s6, s6, 5
	s_add_i32 s5, s5, -5
	s_cmp_lt_u32 s6, s35
	v_add_u32_e32 v18, 0x200, v18
	s_cbranch_scc1 .LBB10_100
; %bb.101:
	s_waitcnt vmcnt(9)
	v_xor_b32_e32 v4, 0x7fffffff, v7
	v_mov_b32_e32 v5, 1
	s_mov_b32 s5, s4
	v_mov_b32_e32 v18, v1
	s_mov_b32 s6, s34
.LBB10_102:                             ; =>This Inner Loop Header: Depth=1
	s_min_u32 s7, s5, 5
	v_lshrrev_b32_e32 v19, s6, v4
	v_bfe_u32 v19, v19, 0, s7
	v_lshl_add_u32 v19, v19, 4, v18
	ds_add_u32 v19, v5
	s_add_i32 s6, s6, 5
	s_add_i32 s5, s5, -5
	s_cmp_lt_u32 s6, s35
	v_add_u32_e32 v18, 0x200, v18
	s_cbranch_scc1 .LBB10_102
	;; [unrolled: 18-line block ×10, first 2 shown]
; %bb.119:
	s_waitcnt vmcnt(0)
	v_xor_b32_e32 v4, 0x7fffffff, v17
	v_mov_b32_e32 v5, 1
	s_mov_b32 s5, s34
.LBB10_120:                             ; =>This Inner Loop Header: Depth=1
	s_min_u32 s6, s4, 5
	v_lshrrev_b32_e32 v18, s5, v4
	v_bfe_u32 v18, v18, 0, s6
	v_lshl_add_u32 v18, v18, 4, v1
	ds_add_u32 v18, v5
	s_add_i32 s5, s5, 5
	s_add_i32 s4, s4, -5
	s_cmp_lt_u32 s5, s35
	v_add_u32_e32 v1, 0x200, v1
	s_cbranch_scc1 .LBB10_120
.LBB10_121:
	s_and_b64 vcc, exec, s[2:3]
	s_waitcnt lgkmcnt(0)
	s_barrier
	s_cbranch_vccz .LBB10_126
; %bb.122:
	v_cmp_gt_u32_e32 vcc, 32, v0
	v_lshlrev_b32_e32 v1, 4, v0
	v_mov_b32_e32 v5, 0
	v_mov_b32_e32 v4, v0
	s_branch .LBB10_124
.LBB10_123:                             ;   in Loop: Header=BB10_124 Depth=1
	s_or_b64 exec, exec, s[2:3]
	s_add_i32 s34, s34, 5
	v_add_u32_e32 v4, 32, v4
	s_cmp_ge_u32 s34, s35
	v_add_u32_e32 v1, 0x200, v1
	s_cbranch_scc1 .LBB10_126
.LBB10_124:                             ; =>This Inner Loop Header: Depth=1
	s_and_saveexec_b64 s[2:3], vcc
	s_cbranch_execz .LBB10_123
; %bb.125:                              ;   in Loop: Header=BB10_124 Depth=1
	ds_read2_b32 v[18:19], v1 offset1:1
	ds_read2_b32 v[20:21], v1 offset0:2 offset1:3
	v_lshl_add_u64 v[22:23], v[4:5], 3, s[26:27]
	s_waitcnt lgkmcnt(1)
	v_add_u32_e32 v18, v19, v18
	s_waitcnt lgkmcnt(0)
	v_add3_u32 v18, v18, v20, v21
	v_mov_b32_e32 v19, v5
	global_atomic_add_x2 v[22:23], v[18:19], off
	s_branch .LBB10_123
.LBB10_126:
	s_mov_b64 s[2:3], 0
.LBB10_127:
	s_and_b64 vcc, exec, s[2:3]
	s_cbranch_vccz .LBB10_137
; %bb.128:
	s_and_saveexec_b64 s[2:3], s[0:1]
	s_cbranch_execz .LBB10_135
; %bb.129:
	s_movk_i32 s0, 0x180
	v_sub_u32_e64 v1, s0, v0 clamp
	v_add_u32_e32 v1, 0x1ff, v1
	v_lshrrev_b32_e32 v4, 9, v1
	s_mov_b32 s4, 0
	v_mov_b32_e32 v1, v4
	s_mov_b32 s5, 1
	s_mov_b64 s[6:7], 0
	v_mov_b32_e32 v5, 0
	s_mov_b32 s8, s4
	s_branch .LBB10_131
.LBB10_130:                             ;   in Loop: Header=BB10_131 Depth=1
	s_or_b64 exec, exec, s[0:1]
	s_add_i32 s8, s8, 2
	v_cmp_eq_u32_e64 s[0:1], 2, s8
	s_or_b64 s[6:7], s[0:1], s[6:7]
	v_add_u32_e32 v2, 0x1000, v2
	s_andn2_b64 exec, exec, s[6:7]
	s_cbranch_execz .LBB10_135
.LBB10_131:                             ; =>This Inner Loop Header: Depth=1
	s_mov_b32 s9, s8
	s_or_b64 s[0:1], s[8:9], s[4:5]
	v_cmp_le_u32_e32 vcc, s1, v1
	v_cmp_le_u32_e64 s[0:1], s0, v4
	s_and_saveexec_b64 s[10:11], s[0:1]
; %bb.132:                              ;   in Loop: Header=BB10_131 Depth=1
	ds_write_b32 v2, v5
; %bb.133:                              ;   in Loop: Header=BB10_131 Depth=1
	s_or_b64 exec, exec, s[10:11]
	s_and_saveexec_b64 s[0:1], vcc
	s_cbranch_execz .LBB10_130
; %bb.134:                              ;   in Loop: Header=BB10_131 Depth=1
	ds_write_b32 v2, v5 offset:2048
	s_branch .LBB10_130
.LBB10_135:
	s_or_b64 exec, exec, s[2:3]
	s_waitcnt vmcnt(11)
	v_xor_b32_e32 v1, 0x7fffffff, v3
	s_waitcnt vmcnt(7)
	v_xor_b32_e32 v5, 0x7fffffff, v10
	;; [unrolled: 2-line block ×3, first 2 shown]
	v_lshlrev_b32_e32 v14, 4, v1
	v_lshlrev_b32_e32 v8, 2, v8
	s_movk_i32 s0, 0x1f0
	v_xor_b32_e32 v2, 0x7fffffff, v6
	v_xor_b32_e32 v6, 0x7fffffff, v11
	s_waitcnt vmcnt(2)
	v_xor_b32_e32 v11, 0x7fffffff, v15
	v_and_or_b32 v14, v14, s0, v8
	v_mov_b32_e32 v15, 1
	s_waitcnt lgkmcnt(0)
	s_barrier
	ds_add_u32 v14, v15
	v_lshrrev_b32_e32 v14, 1, v1
	v_and_or_b32 v14, v14, s0, v8
	ds_add_u32 v14, v15 offset:512
	v_lshrrev_b32_e32 v14, 6, v1
	v_and_or_b32 v14, v14, s0, v8
	ds_add_u32 v14, v15 offset:1024
	;; [unrolled: 3-line block ×4, first 2 shown]
	v_lshrrev_b32_e32 v14, 21, v1
	v_and_or_b32 v14, v14, s0, v8
	v_lshrrev_b32_e32 v1, 26, v1
	ds_add_u32 v14, v15 offset:2560
	v_and_or_b32 v1, v1, 48, v8
	ds_add_u32 v1, v15 offset:3072
	v_lshlrev_b32_e32 v1, 4, v2
	v_and_or_b32 v1, v1, s0, v8
	ds_add_u32 v1, v15
	v_lshrrev_b32_e32 v1, 1, v2
	v_and_or_b32 v1, v1, s0, v8
	ds_add_u32 v1, v15 offset:512
	v_lshrrev_b32_e32 v1, 6, v2
	v_and_or_b32 v1, v1, s0, v8
	ds_add_u32 v1, v15 offset:1024
	;; [unrolled: 3-line block ×5, first 2 shown]
	v_lshrrev_b32_e32 v1, 26, v2
	v_xor_b32_e32 v3, 0x7fffffff, v7
	v_and_or_b32 v1, v1, 48, v8
	ds_add_u32 v1, v15 offset:3072
	v_lshlrev_b32_e32 v1, 4, v3
	v_and_or_b32 v1, v1, s0, v8
	ds_add_u32 v1, v15
	v_lshrrev_b32_e32 v1, 1, v3
	v_and_or_b32 v1, v1, s0, v8
	ds_add_u32 v1, v15 offset:512
	v_lshrrev_b32_e32 v1, 6, v3
	v_and_or_b32 v1, v1, s0, v8
	ds_add_u32 v1, v15 offset:1024
	;; [unrolled: 3-line block ×5, first 2 shown]
	v_lshrrev_b32_e32 v1, 26, v3
	v_xor_b32_e32 v4, 0x7fffffff, v9
	v_and_or_b32 v1, v1, 48, v8
	ds_add_u32 v1, v15 offset:3072
	v_lshlrev_b32_e32 v1, 4, v4
	v_and_or_b32 v1, v1, s0, v8
	ds_add_u32 v1, v15
	v_lshrrev_b32_e32 v1, 1, v4
	v_and_or_b32 v1, v1, s0, v8
	ds_add_u32 v1, v15 offset:512
	v_lshrrev_b32_e32 v1, 6, v4
	v_and_or_b32 v1, v1, s0, v8
	ds_add_u32 v1, v15 offset:1024
	v_lshrrev_b32_e32 v1, 11, v4
	v_and_or_b32 v1, v1, s0, v8
	ds_add_u32 v1, v15 offset:1536
	v_lshrrev_b32_e32 v1, 16, v4
	v_and_or_b32 v1, v1, s0, v8
	ds_add_u32 v1, v15 offset:2048
	v_lshrrev_b32_e32 v1, 21, v4
	v_and_or_b32 v1, v1, s0, v8
	ds_add_u32 v1, v15 offset:2560
	v_lshrrev_b32_e32 v1, 26, v4
	v_and_or_b32 v1, v1, 48, v8
	ds_add_u32 v1, v15 offset:3072
	v_lshlrev_b32_e32 v1, 4, v5
	v_and_or_b32 v1, v1, s0, v8
	ds_add_u32 v1, v15
	v_lshrrev_b32_e32 v1, 1, v5
	v_and_or_b32 v1, v1, s0, v8
	ds_add_u32 v1, v15 offset:512
	v_lshrrev_b32_e32 v1, 6, v5
	v_and_or_b32 v1, v1, s0, v8
	ds_add_u32 v1, v15 offset:1024
	v_lshrrev_b32_e32 v1, 11, v5
	v_and_or_b32 v1, v1, s0, v8
	ds_add_u32 v1, v15 offset:1536
	v_lshrrev_b32_e32 v1, 16, v5
	v_and_or_b32 v1, v1, s0, v8
	ds_add_u32 v1, v15 offset:2048
	v_lshrrev_b32_e32 v1, 21, v5
	v_and_or_b32 v1, v1, s0, v8
	ds_add_u32 v1, v15 offset:2560
	v_lshrrev_b32_e32 v1, 26, v5
	;; [unrolled: 21-line block ×3, first 2 shown]
	v_xor_b32_e32 v7, 0x7fffffff, v12
	v_and_or_b32 v1, v1, 48, v8
	ds_add_u32 v1, v15 offset:3072
	v_lshlrev_b32_e32 v1, 4, v7
	v_and_or_b32 v1, v1, s0, v8
	ds_add_u32 v1, v15
	v_lshrrev_b32_e32 v1, 1, v7
	v_and_or_b32 v1, v1, s0, v8
	ds_add_u32 v1, v15 offset:512
	v_lshrrev_b32_e32 v1, 6, v7
	v_and_or_b32 v1, v1, s0, v8
	ds_add_u32 v1, v15 offset:1024
	;; [unrolled: 3-line block ×5, first 2 shown]
	v_lshrrev_b32_e32 v1, 26, v7
	v_xor_b32_e32 v9, 0x7fffffff, v13
	v_and_or_b32 v1, v1, 48, v8
	ds_add_u32 v1, v15 offset:3072
	v_lshlrev_b32_e32 v1, 4, v9
	v_and_or_b32 v1, v1, s0, v8
	ds_add_u32 v1, v15
	v_lshrrev_b32_e32 v1, 1, v9
	v_and_or_b32 v1, v1, s0, v8
	ds_add_u32 v1, v15 offset:512
	v_lshrrev_b32_e32 v1, 6, v9
	v_and_or_b32 v1, v1, s0, v8
	ds_add_u32 v1, v15 offset:1024
	v_lshrrev_b32_e32 v1, 11, v9
	v_and_or_b32 v1, v1, s0, v8
	ds_add_u32 v1, v15 offset:1536
	v_lshrrev_b32_e32 v1, 16, v9
	v_and_or_b32 v1, v1, s0, v8
	ds_add_u32 v1, v15 offset:2048
	v_lshrrev_b32_e32 v1, 21, v9
	v_and_or_b32 v1, v1, s0, v8
	ds_add_u32 v1, v15 offset:2560
	v_lshrrev_b32_e32 v1, 26, v9
	v_and_or_b32 v1, v1, 48, v8
	ds_add_u32 v1, v15 offset:3072
	v_lshlrev_b32_e32 v1, 4, v10
	v_and_or_b32 v1, v1, s0, v8
	ds_add_u32 v1, v15
	v_lshrrev_b32_e32 v1, 1, v10
	v_and_or_b32 v1, v1, s0, v8
	ds_add_u32 v1, v15 offset:512
	v_lshrrev_b32_e32 v1, 6, v10
	v_and_or_b32 v1, v1, s0, v8
	ds_add_u32 v1, v15 offset:1024
	v_lshrrev_b32_e32 v1, 11, v10
	v_and_or_b32 v1, v1, s0, v8
	ds_add_u32 v1, v15 offset:1536
	v_lshrrev_b32_e32 v1, 16, v10
	v_and_or_b32 v1, v1, s0, v8
	ds_add_u32 v1, v15 offset:2048
	v_lshrrev_b32_e32 v1, 21, v10
	v_and_or_b32 v1, v1, s0, v8
	ds_add_u32 v1, v15 offset:2560
	v_lshrrev_b32_e32 v1, 26, v10
	;; [unrolled: 21-line block ×3, first 2 shown]
	s_waitcnt vmcnt(1)
	v_xor_b32_e32 v12, 0x7fffffff, v16
	v_and_or_b32 v1, v1, 48, v8
	ds_add_u32 v1, v15 offset:3072
	v_lshlrev_b32_e32 v1, 4, v12
	v_and_or_b32 v1, v1, s0, v8
	ds_add_u32 v1, v15
	v_lshrrev_b32_e32 v1, 1, v12
	v_and_or_b32 v1, v1, s0, v8
	ds_add_u32 v1, v15 offset:512
	v_lshrrev_b32_e32 v1, 6, v12
	v_and_or_b32 v1, v1, s0, v8
	ds_add_u32 v1, v15 offset:1024
	;; [unrolled: 3-line block ×5, first 2 shown]
	v_lshrrev_b32_e32 v1, 26, v12
	s_waitcnt vmcnt(0)
	v_xor_b32_e32 v13, 0x7fffffff, v17
	v_and_or_b32 v1, v1, 48, v8
	ds_add_u32 v1, v15 offset:3072
	v_lshlrev_b32_e32 v1, 4, v13
	v_and_or_b32 v1, v1, s0, v8
	ds_add_u32 v1, v15
	v_lshrrev_b32_e32 v1, 1, v13
	v_and_or_b32 v1, v1, s0, v8
	ds_add_u32 v1, v15 offset:512
	v_lshrrev_b32_e32 v1, 6, v13
	v_and_or_b32 v1, v1, s0, v8
	ds_add_u32 v1, v15 offset:1024
	;; [unrolled: 3-line block ×6, first 2 shown]
	v_cmp_gt_u32_e32 vcc, 32, v0
	s_waitcnt lgkmcnt(0)
	s_barrier
	s_and_saveexec_b64 s[0:1], vcc
	s_cbranch_execz .LBB10_137
; %bb.136:
	v_lshlrev_b32_e32 v6, 4, v0
	ds_read2_b32 v[2:3], v6 offset1:1
	ds_read2_b32 v[4:5], v6 offset0:2 offset1:3
	v_lshlrev_b32_e32 v7, 3, v0
	v_mov_b32_e32 v1, 0
	v_add_u32_e32 v8, 0x400, v6
	s_waitcnt lgkmcnt(1)
	v_add_u32_e32 v0, v3, v2
	s_waitcnt lgkmcnt(0)
	v_add3_u32 v0, v0, v4, v5
	global_atomic_add_x2 v7, v[0:1], s[26:27]
	ds_read2_b32 v[2:3], v6 offset0:128 offset1:129
	ds_read2_b32 v[4:5], v6 offset0:130 offset1:131
	v_add_u32_e32 v9, 0x408, v6
	s_waitcnt lgkmcnt(1)
	v_add_u32_e32 v0, v3, v2
	s_waitcnt lgkmcnt(0)
	v_add3_u32 v0, v0, v4, v5
	global_atomic_add_x2 v7, v[0:1], s[26:27] offset:256
	ds_read2_b32 v[2:3], v8 offset1:1
	ds_read2_b32 v[4:5], v9 offset1:1
	v_add_u32_e32 v8, 0x600, v6
	v_add_u32_e32 v9, 0x608, v6
	s_waitcnt lgkmcnt(1)
	v_add_u32_e32 v0, v3, v2
	s_waitcnt lgkmcnt(0)
	v_add3_u32 v0, v0, v4, v5
	global_atomic_add_x2 v7, v[0:1], s[26:27] offset:512
	ds_read2_b32 v[2:3], v8 offset1:1
	ds_read2_b32 v[4:5], v9 offset1:1
	v_add_u32_e32 v8, 0x800, v6
	;; [unrolled: 9-line block ×4, first 2 shown]
	s_waitcnt lgkmcnt(1)
	v_add_u32_e32 v0, v3, v2
	s_waitcnt lgkmcnt(0)
	v_add3_u32 v0, v0, v4, v5
	global_atomic_add_x2 v7, v[0:1], s[26:27] offset:1280
	v_add_u32_e32 v0, 0xc08, v6
	ds_read2_b32 v[2:3], v8 offset1:1
	ds_read2_b32 v[4:5], v0 offset1:1
	s_waitcnt lgkmcnt(1)
	v_add_u32_e32 v0, v3, v2
	s_waitcnt lgkmcnt(0)
	v_add3_u32 v0, v0, v4, v5
	global_atomic_add_x2 v7, v[0:1], s[26:27] offset:1536
.LBB10_137:
	s_endpgm
	.section	.rodata,"a",@progbits
	.p2align	6, 0x0
	.amdhsa_kernel _ZN7rocprim17ROCPRIM_304000_NS6detail26onesweep_histograms_kernelINS1_34wrapped_radix_sort_onesweep_configINS0_14default_configEiN2at4cuda3cub6detail10OpaqueTypeILi4EEEEELb1EPKimNS0_19identity_decomposerEEEvT1_PT2_SG_SG_T3_jj
		.amdhsa_group_segment_fixed_size 3584
		.amdhsa_private_segment_fixed_size 0
		.amdhsa_kernarg_size 44
		.amdhsa_user_sgpr_count 2
		.amdhsa_user_sgpr_dispatch_ptr 0
		.amdhsa_user_sgpr_queue_ptr 0
		.amdhsa_user_sgpr_kernarg_segment_ptr 1
		.amdhsa_user_sgpr_dispatch_id 0
		.amdhsa_user_sgpr_kernarg_preload_length 0
		.amdhsa_user_sgpr_kernarg_preload_offset 0
		.amdhsa_user_sgpr_private_segment_size 0
		.amdhsa_uses_dynamic_stack 0
		.amdhsa_enable_private_segment 0
		.amdhsa_system_sgpr_workgroup_id_x 1
		.amdhsa_system_sgpr_workgroup_id_y 0
		.amdhsa_system_sgpr_workgroup_id_z 0
		.amdhsa_system_sgpr_workgroup_info 0
		.amdhsa_system_vgpr_workitem_id 0
		.amdhsa_next_free_vgpr 24
		.amdhsa_next_free_sgpr 42
		.amdhsa_accum_offset 24
		.amdhsa_reserve_vcc 1
		.amdhsa_float_round_mode_32 0
		.amdhsa_float_round_mode_16_64 0
		.amdhsa_float_denorm_mode_32 3
		.amdhsa_float_denorm_mode_16_64 3
		.amdhsa_dx10_clamp 1
		.amdhsa_ieee_mode 1
		.amdhsa_fp16_overflow 0
		.amdhsa_tg_split 0
		.amdhsa_exception_fp_ieee_invalid_op 0
		.amdhsa_exception_fp_denorm_src 0
		.amdhsa_exception_fp_ieee_div_zero 0
		.amdhsa_exception_fp_ieee_overflow 0
		.amdhsa_exception_fp_ieee_underflow 0
		.amdhsa_exception_fp_ieee_inexact 0
		.amdhsa_exception_int_div_zero 0
	.end_amdhsa_kernel
	.section	.text._ZN7rocprim17ROCPRIM_304000_NS6detail26onesweep_histograms_kernelINS1_34wrapped_radix_sort_onesweep_configINS0_14default_configEiN2at4cuda3cub6detail10OpaqueTypeILi4EEEEELb1EPKimNS0_19identity_decomposerEEEvT1_PT2_SG_SG_T3_jj,"axG",@progbits,_ZN7rocprim17ROCPRIM_304000_NS6detail26onesweep_histograms_kernelINS1_34wrapped_radix_sort_onesweep_configINS0_14default_configEiN2at4cuda3cub6detail10OpaqueTypeILi4EEEEELb1EPKimNS0_19identity_decomposerEEEvT1_PT2_SG_SG_T3_jj,comdat
.Lfunc_end10:
	.size	_ZN7rocprim17ROCPRIM_304000_NS6detail26onesweep_histograms_kernelINS1_34wrapped_radix_sort_onesweep_configINS0_14default_configEiN2at4cuda3cub6detail10OpaqueTypeILi4EEEEELb1EPKimNS0_19identity_decomposerEEEvT1_PT2_SG_SG_T3_jj, .Lfunc_end10-_ZN7rocprim17ROCPRIM_304000_NS6detail26onesweep_histograms_kernelINS1_34wrapped_radix_sort_onesweep_configINS0_14default_configEiN2at4cuda3cub6detail10OpaqueTypeILi4EEEEELb1EPKimNS0_19identity_decomposerEEEvT1_PT2_SG_SG_T3_jj
                                        ; -- End function
	.set _ZN7rocprim17ROCPRIM_304000_NS6detail26onesweep_histograms_kernelINS1_34wrapped_radix_sort_onesweep_configINS0_14default_configEiN2at4cuda3cub6detail10OpaqueTypeILi4EEEEELb1EPKimNS0_19identity_decomposerEEEvT1_PT2_SG_SG_T3_jj.num_vgpr, 24
	.set _ZN7rocprim17ROCPRIM_304000_NS6detail26onesweep_histograms_kernelINS1_34wrapped_radix_sort_onesweep_configINS0_14default_configEiN2at4cuda3cub6detail10OpaqueTypeILi4EEEEELb1EPKimNS0_19identity_decomposerEEEvT1_PT2_SG_SG_T3_jj.num_agpr, 0
	.set _ZN7rocprim17ROCPRIM_304000_NS6detail26onesweep_histograms_kernelINS1_34wrapped_radix_sort_onesweep_configINS0_14default_configEiN2at4cuda3cub6detail10OpaqueTypeILi4EEEEELb1EPKimNS0_19identity_decomposerEEEvT1_PT2_SG_SG_T3_jj.numbered_sgpr, 42
	.set _ZN7rocprim17ROCPRIM_304000_NS6detail26onesweep_histograms_kernelINS1_34wrapped_radix_sort_onesweep_configINS0_14default_configEiN2at4cuda3cub6detail10OpaqueTypeILi4EEEEELb1EPKimNS0_19identity_decomposerEEEvT1_PT2_SG_SG_T3_jj.num_named_barrier, 0
	.set _ZN7rocprim17ROCPRIM_304000_NS6detail26onesweep_histograms_kernelINS1_34wrapped_radix_sort_onesweep_configINS0_14default_configEiN2at4cuda3cub6detail10OpaqueTypeILi4EEEEELb1EPKimNS0_19identity_decomposerEEEvT1_PT2_SG_SG_T3_jj.private_seg_size, 0
	.set _ZN7rocprim17ROCPRIM_304000_NS6detail26onesweep_histograms_kernelINS1_34wrapped_radix_sort_onesweep_configINS0_14default_configEiN2at4cuda3cub6detail10OpaqueTypeILi4EEEEELb1EPKimNS0_19identity_decomposerEEEvT1_PT2_SG_SG_T3_jj.uses_vcc, 1
	.set _ZN7rocprim17ROCPRIM_304000_NS6detail26onesweep_histograms_kernelINS1_34wrapped_radix_sort_onesweep_configINS0_14default_configEiN2at4cuda3cub6detail10OpaqueTypeILi4EEEEELb1EPKimNS0_19identity_decomposerEEEvT1_PT2_SG_SG_T3_jj.uses_flat_scratch, 0
	.set _ZN7rocprim17ROCPRIM_304000_NS6detail26onesweep_histograms_kernelINS1_34wrapped_radix_sort_onesweep_configINS0_14default_configEiN2at4cuda3cub6detail10OpaqueTypeILi4EEEEELb1EPKimNS0_19identity_decomposerEEEvT1_PT2_SG_SG_T3_jj.has_dyn_sized_stack, 0
	.set _ZN7rocprim17ROCPRIM_304000_NS6detail26onesweep_histograms_kernelINS1_34wrapped_radix_sort_onesweep_configINS0_14default_configEiN2at4cuda3cub6detail10OpaqueTypeILi4EEEEELb1EPKimNS0_19identity_decomposerEEEvT1_PT2_SG_SG_T3_jj.has_recursion, 0
	.set _ZN7rocprim17ROCPRIM_304000_NS6detail26onesweep_histograms_kernelINS1_34wrapped_radix_sort_onesweep_configINS0_14default_configEiN2at4cuda3cub6detail10OpaqueTypeILi4EEEEELb1EPKimNS0_19identity_decomposerEEEvT1_PT2_SG_SG_T3_jj.has_indirect_call, 0
	.section	.AMDGPU.csdata,"",@progbits
; Kernel info:
; codeLenInByte = 6216
; TotalNumSgprs: 48
; NumVgprs: 24
; NumAgprs: 0
; TotalNumVgprs: 24
; ScratchSize: 0
; MemoryBound: 0
; FloatMode: 240
; IeeeMode: 1
; LDSByteSize: 3584 bytes/workgroup (compile time only)
; SGPRBlocks: 5
; VGPRBlocks: 2
; NumSGPRsForWavesPerEU: 48
; NumVGPRsForWavesPerEU: 24
; AccumOffset: 24
; Occupancy: 8
; WaveLimiterHint : 1
; COMPUTE_PGM_RSRC2:SCRATCH_EN: 0
; COMPUTE_PGM_RSRC2:USER_SGPR: 2
; COMPUTE_PGM_RSRC2:TRAP_HANDLER: 0
; COMPUTE_PGM_RSRC2:TGID_X_EN: 1
; COMPUTE_PGM_RSRC2:TGID_Y_EN: 0
; COMPUTE_PGM_RSRC2:TGID_Z_EN: 0
; COMPUTE_PGM_RSRC2:TIDIG_COMP_CNT: 0
; COMPUTE_PGM_RSRC3_GFX90A:ACCUM_OFFSET: 5
; COMPUTE_PGM_RSRC3_GFX90A:TG_SPLIT: 0
	.section	.text._ZN7rocprim17ROCPRIM_304000_NS6detail31onesweep_scan_histograms_kernelINS1_34wrapped_radix_sort_onesweep_configINS0_14default_configEiN2at4cuda3cub6detail10OpaqueTypeILi4EEEEEmEEvPT0_,"axG",@progbits,_ZN7rocprim17ROCPRIM_304000_NS6detail31onesweep_scan_histograms_kernelINS1_34wrapped_radix_sort_onesweep_configINS0_14default_configEiN2at4cuda3cub6detail10OpaqueTypeILi4EEEEEmEEvPT0_,comdat
	.protected	_ZN7rocprim17ROCPRIM_304000_NS6detail31onesweep_scan_histograms_kernelINS1_34wrapped_radix_sort_onesweep_configINS0_14default_configEiN2at4cuda3cub6detail10OpaqueTypeILi4EEEEEmEEvPT0_ ; -- Begin function _ZN7rocprim17ROCPRIM_304000_NS6detail31onesweep_scan_histograms_kernelINS1_34wrapped_radix_sort_onesweep_configINS0_14default_configEiN2at4cuda3cub6detail10OpaqueTypeILi4EEEEEmEEvPT0_
	.globl	_ZN7rocprim17ROCPRIM_304000_NS6detail31onesweep_scan_histograms_kernelINS1_34wrapped_radix_sort_onesweep_configINS0_14default_configEiN2at4cuda3cub6detail10OpaqueTypeILi4EEEEEmEEvPT0_
	.p2align	8
	.type	_ZN7rocprim17ROCPRIM_304000_NS6detail31onesweep_scan_histograms_kernelINS1_34wrapped_radix_sort_onesweep_configINS0_14default_configEiN2at4cuda3cub6detail10OpaqueTypeILi4EEEEEmEEvPT0_,@function
_ZN7rocprim17ROCPRIM_304000_NS6detail31onesweep_scan_histograms_kernelINS1_34wrapped_radix_sort_onesweep_configINS0_14default_configEiN2at4cuda3cub6detail10OpaqueTypeILi4EEEEEmEEvPT0_: ; @_ZN7rocprim17ROCPRIM_304000_NS6detail31onesweep_scan_histograms_kernelINS1_34wrapped_radix_sort_onesweep_configINS0_14default_configEiN2at4cuda3cub6detail10OpaqueTypeILi4EEEEEmEEvPT0_
; %bb.0:
	s_load_dwordx2 s[0:1], s[0:1], 0x0
	s_lshl_b32 s2, s2, 5
	s_mov_b32 s3, 0
	s_lshl_b64 s[2:3], s[2:3], 3
	v_cmp_gt_u32_e32 vcc, 32, v0
	s_waitcnt lgkmcnt(0)
	s_add_u32 s6, s0, s2
	s_addc_u32 s7, s1, s3
	v_lshlrev_b32_e32 v8, 3, v0
                                        ; implicit-def: $vgpr2_vgpr3
	s_and_saveexec_b64 s[0:1], vcc
	s_cbranch_execz .LBB11_2
; %bb.1:
	global_load_dwordx2 v[2:3], v8, s[6:7]
.LBB11_2:
	s_or_b64 exec, exec, s[0:1]
	v_mbcnt_lo_u32_b32 v1, -1, 0
	v_mov_b32_e32 v6, 0
	v_mbcnt_hi_u32_b32 v9, -1, v1
	s_waitcnt vmcnt(0)
	v_mov_b32_dpp v4, v2 row_shr:1 row_mask:0xf bank_mask:0xf
	v_mov_b32_e32 v5, v6
	v_and_b32_e32 v1, 15, v9
	v_mov_b32_dpp v7, v3 row_shr:1 row_mask:0xf bank_mask:0xf
	v_lshl_add_u64 v[4:5], v[2:3], 0, v[4:5]
	v_lshl_add_u64 v[6:7], v[6:7], 0, v[4:5]
	v_cmp_eq_u32_e64 s[0:1], 0, v1
	v_cmp_ne_u32_e64 s[4:5], 0, v9
	s_nop 0
	v_cndmask_b32_e64 v10, v4, v2, s[0:1]
	v_cndmask_b32_e64 v5, v7, v3, s[0:1]
	v_cndmask_b32_e64 v4, v6, v2, s[0:1]
	v_mov_b32_dpp v6, v10 row_shr:2 row_mask:0xf bank_mask:0xf
	v_mov_b32_dpp v7, v5 row_shr:2 row_mask:0xf bank_mask:0xf
	v_lshl_add_u64 v[6:7], v[6:7], 0, v[4:5]
	v_cmp_lt_u32_e64 s[0:1], 1, v1
	s_nop 1
	v_cndmask_b32_e64 v10, v10, v6, s[0:1]
	v_cndmask_b32_e64 v5, v5, v7, s[0:1]
	v_cndmask_b32_e64 v4, v4, v6, s[0:1]
	v_mov_b32_dpp v6, v10 row_shr:4 row_mask:0xf bank_mask:0xf
	v_mov_b32_dpp v7, v5 row_shr:4 row_mask:0xf bank_mask:0xf
	v_lshl_add_u64 v[6:7], v[6:7], 0, v[4:5]
	v_cmp_lt_u32_e64 s[0:1], 3, v1
	;; [unrolled: 8-line block ×3, first 2 shown]
	s_nop 1
	v_cndmask_b32_e64 v1, v10, v6, s[0:1]
	v_cndmask_b32_e64 v5, v5, v7, s[0:1]
	v_cndmask_b32_e64 v4, v4, v6, s[0:1]
	v_mov_b32_dpp v6, v1 row_bcast:15 row_mask:0xf bank_mask:0xf
	v_mov_b32_dpp v7, v5 row_bcast:15 row_mask:0xf bank_mask:0xf
	v_and_b32_e32 v10, 16, v9
	v_lshl_add_u64 v[6:7], v[6:7], 0, v[4:5]
	v_cmp_eq_u32_e64 s[2:3], 0, v10
	v_cmp_eq_u32_e64 s[0:1], 0, v9
	s_nop 0
	v_cndmask_b32_e64 v10, v7, v5, s[2:3]
	v_cndmask_b32_e64 v1, v6, v1, s[2:3]
	s_nop 0
	v_mov_b32_dpp v10, v10 row_bcast:31 row_mask:0xf bank_mask:0xf
	v_mov_b32_dpp v1, v1 row_bcast:31 row_mask:0xf bank_mask:0xf
	s_and_saveexec_b64 s[8:9], s[4:5]
; %bb.3:
	v_cndmask_b32_e64 v3, v7, v5, s[2:3]
	v_cndmask_b32_e64 v2, v6, v4, s[2:3]
	v_cmp_lt_u32_e64 s[2:3], 31, v9
	s_nop 1
	v_cndmask_b32_e64 v5, 0, v10, s[2:3]
	v_cndmask_b32_e64 v4, 0, v1, s[2:3]
	v_lshl_add_u64 v[2:3], v[4:5], 0, v[2:3]
; %bb.4:
	s_or_b64 exec, exec, s[8:9]
	v_or_b32_e32 v1, 63, v0
	v_lshrrev_b32_e32 v4, 6, v0
	v_cmp_eq_u32_e64 s[2:3], v0, v1
	s_and_saveexec_b64 s[4:5], s[2:3]
; %bb.5:
	v_lshlrev_b32_e32 v1, 3, v4
	ds_write_b64 v1, v[2:3]
; %bb.6:
	s_or_b64 exec, exec, s[4:5]
	v_cmp_gt_u32_e64 s[2:3], 8, v0
	s_waitcnt lgkmcnt(0)
	s_barrier
	s_and_saveexec_b64 s[4:5], s[2:3]
	s_cbranch_execz .LBB11_8
; %bb.7:
	ds_read_b64 v[6:7], v8
	v_mov_b32_e32 v10, 0
	v_and_b32_e32 v1, 7, v9
	v_mov_b32_e32 v13, v10
	v_cmp_eq_u32_e64 s[2:3], 0, v1
	s_waitcnt lgkmcnt(0)
	v_mov_b32_dpp v12, v6 row_shr:1 row_mask:0xf bank_mask:0xf
	v_mov_b32_dpp v11, v7 row_shr:1 row_mask:0xf bank_mask:0xf
	v_lshl_add_u64 v[12:13], v[6:7], 0, v[12:13]
	v_lshl_add_u64 v[14:15], v[10:11], 0, v[12:13]
	v_cndmask_b32_e64 v5, v12, v6, s[2:3]
	v_cndmask_b32_e64 v15, v15, v7, s[2:3]
	;; [unrolled: 1-line block ×3, first 2 shown]
	v_mov_b32_dpp v6, v5 row_shr:2 row_mask:0xf bank_mask:0xf
	v_mov_b32_e32 v7, v10
	v_mov_b32_dpp v11, v15 row_shr:2 row_mask:0xf bank_mask:0xf
	v_lshl_add_u64 v[6:7], v[14:15], 0, v[6:7]
	v_lshl_add_u64 v[10:11], v[6:7], 0, v[10:11]
	v_cmp_lt_u32_e64 s[2:3], 1, v1
	s_nop 1
	v_cndmask_b32_e64 v11, v15, v11, s[2:3]
	v_cndmask_b32_e64 v5, v5, v6, s[2:3]
	;; [unrolled: 1-line block ×3, first 2 shown]
	v_mov_b32_dpp v7, v11 row_shr:4 row_mask:0xf bank_mask:0xf
	v_mov_b32_dpp v5, v5 row_shr:4 row_mask:0xf bank_mask:0xf
	v_cmp_lt_u32_e64 s[2:3], 3, v1
	s_nop 1
	v_cndmask_b32_e64 v6, 0, v5, s[2:3]
	v_cndmask_b32_e64 v7, 0, v7, s[2:3]
	v_lshl_add_u64 v[6:7], v[6:7], 0, v[10:11]
	ds_write_b64 v8, v[6:7]
.LBB11_8:
	s_or_b64 exec, exec, s[4:5]
	v_cmp_lt_u32_e64 s[2:3], 63, v0
	v_mov_b64_e32 v[0:1], 0
	s_waitcnt lgkmcnt(0)
	s_barrier
	s_and_saveexec_b64 s[4:5], s[2:3]
; %bb.9:
	v_lshl_add_u32 v0, v4, 3, -8
	ds_read_b64 v[0:1], v0
; %bb.10:
	s_or_b64 exec, exec, s[4:5]
	v_add_u32_e32 v4, -1, v9
	v_and_b32_e32 v5, 64, v9
	v_cmp_lt_i32_e64 s[2:3], v4, v5
	s_waitcnt lgkmcnt(0)
	v_lshl_add_u64 v[2:3], v[0:1], 0, v[2:3]
	v_cndmask_b32_e64 v4, v4, v9, s[2:3]
	v_lshlrev_b32_e32 v4, 2, v4
	ds_bpermute_b32 v2, v4, v2
	ds_bpermute_b32 v3, v4, v3
	s_and_saveexec_b64 s[2:3], vcc
	s_cbranch_execz .LBB11_12
; %bb.11:
	s_waitcnt lgkmcnt(0)
	v_cndmask_b32_e64 v1, v3, v1, s[0:1]
	v_cndmask_b32_e64 v0, v2, v0, s[0:1]
	global_store_dwordx2 v8, v[0:1], s[6:7]
.LBB11_12:
	s_endpgm
	.section	.rodata,"a",@progbits
	.p2align	6, 0x0
	.amdhsa_kernel _ZN7rocprim17ROCPRIM_304000_NS6detail31onesweep_scan_histograms_kernelINS1_34wrapped_radix_sort_onesweep_configINS0_14default_configEiN2at4cuda3cub6detail10OpaqueTypeILi4EEEEEmEEvPT0_
		.amdhsa_group_segment_fixed_size 64
		.amdhsa_private_segment_fixed_size 0
		.amdhsa_kernarg_size 8
		.amdhsa_user_sgpr_count 2
		.amdhsa_user_sgpr_dispatch_ptr 0
		.amdhsa_user_sgpr_queue_ptr 0
		.amdhsa_user_sgpr_kernarg_segment_ptr 1
		.amdhsa_user_sgpr_dispatch_id 0
		.amdhsa_user_sgpr_kernarg_preload_length 0
		.amdhsa_user_sgpr_kernarg_preload_offset 0
		.amdhsa_user_sgpr_private_segment_size 0
		.amdhsa_uses_dynamic_stack 0
		.amdhsa_enable_private_segment 0
		.amdhsa_system_sgpr_workgroup_id_x 1
		.amdhsa_system_sgpr_workgroup_id_y 0
		.amdhsa_system_sgpr_workgroup_id_z 0
		.amdhsa_system_sgpr_workgroup_info 0
		.amdhsa_system_vgpr_workitem_id 0
		.amdhsa_next_free_vgpr 16
		.amdhsa_next_free_sgpr 10
		.amdhsa_accum_offset 16
		.amdhsa_reserve_vcc 1
		.amdhsa_float_round_mode_32 0
		.amdhsa_float_round_mode_16_64 0
		.amdhsa_float_denorm_mode_32 3
		.amdhsa_float_denorm_mode_16_64 3
		.amdhsa_dx10_clamp 1
		.amdhsa_ieee_mode 1
		.amdhsa_fp16_overflow 0
		.amdhsa_tg_split 0
		.amdhsa_exception_fp_ieee_invalid_op 0
		.amdhsa_exception_fp_denorm_src 0
		.amdhsa_exception_fp_ieee_div_zero 0
		.amdhsa_exception_fp_ieee_overflow 0
		.amdhsa_exception_fp_ieee_underflow 0
		.amdhsa_exception_fp_ieee_inexact 0
		.amdhsa_exception_int_div_zero 0
	.end_amdhsa_kernel
	.section	.text._ZN7rocprim17ROCPRIM_304000_NS6detail31onesweep_scan_histograms_kernelINS1_34wrapped_radix_sort_onesweep_configINS0_14default_configEiN2at4cuda3cub6detail10OpaqueTypeILi4EEEEEmEEvPT0_,"axG",@progbits,_ZN7rocprim17ROCPRIM_304000_NS6detail31onesweep_scan_histograms_kernelINS1_34wrapped_radix_sort_onesweep_configINS0_14default_configEiN2at4cuda3cub6detail10OpaqueTypeILi4EEEEEmEEvPT0_,comdat
.Lfunc_end11:
	.size	_ZN7rocprim17ROCPRIM_304000_NS6detail31onesweep_scan_histograms_kernelINS1_34wrapped_radix_sort_onesweep_configINS0_14default_configEiN2at4cuda3cub6detail10OpaqueTypeILi4EEEEEmEEvPT0_, .Lfunc_end11-_ZN7rocprim17ROCPRIM_304000_NS6detail31onesweep_scan_histograms_kernelINS1_34wrapped_radix_sort_onesweep_configINS0_14default_configEiN2at4cuda3cub6detail10OpaqueTypeILi4EEEEEmEEvPT0_
                                        ; -- End function
	.set _ZN7rocprim17ROCPRIM_304000_NS6detail31onesweep_scan_histograms_kernelINS1_34wrapped_radix_sort_onesweep_configINS0_14default_configEiN2at4cuda3cub6detail10OpaqueTypeILi4EEEEEmEEvPT0_.num_vgpr, 16
	.set _ZN7rocprim17ROCPRIM_304000_NS6detail31onesweep_scan_histograms_kernelINS1_34wrapped_radix_sort_onesweep_configINS0_14default_configEiN2at4cuda3cub6detail10OpaqueTypeILi4EEEEEmEEvPT0_.num_agpr, 0
	.set _ZN7rocprim17ROCPRIM_304000_NS6detail31onesweep_scan_histograms_kernelINS1_34wrapped_radix_sort_onesweep_configINS0_14default_configEiN2at4cuda3cub6detail10OpaqueTypeILi4EEEEEmEEvPT0_.numbered_sgpr, 10
	.set _ZN7rocprim17ROCPRIM_304000_NS6detail31onesweep_scan_histograms_kernelINS1_34wrapped_radix_sort_onesweep_configINS0_14default_configEiN2at4cuda3cub6detail10OpaqueTypeILi4EEEEEmEEvPT0_.num_named_barrier, 0
	.set _ZN7rocprim17ROCPRIM_304000_NS6detail31onesweep_scan_histograms_kernelINS1_34wrapped_radix_sort_onesweep_configINS0_14default_configEiN2at4cuda3cub6detail10OpaqueTypeILi4EEEEEmEEvPT0_.private_seg_size, 0
	.set _ZN7rocprim17ROCPRIM_304000_NS6detail31onesweep_scan_histograms_kernelINS1_34wrapped_radix_sort_onesweep_configINS0_14default_configEiN2at4cuda3cub6detail10OpaqueTypeILi4EEEEEmEEvPT0_.uses_vcc, 1
	.set _ZN7rocprim17ROCPRIM_304000_NS6detail31onesweep_scan_histograms_kernelINS1_34wrapped_radix_sort_onesweep_configINS0_14default_configEiN2at4cuda3cub6detail10OpaqueTypeILi4EEEEEmEEvPT0_.uses_flat_scratch, 0
	.set _ZN7rocprim17ROCPRIM_304000_NS6detail31onesweep_scan_histograms_kernelINS1_34wrapped_radix_sort_onesweep_configINS0_14default_configEiN2at4cuda3cub6detail10OpaqueTypeILi4EEEEEmEEvPT0_.has_dyn_sized_stack, 0
	.set _ZN7rocprim17ROCPRIM_304000_NS6detail31onesweep_scan_histograms_kernelINS1_34wrapped_radix_sort_onesweep_configINS0_14default_configEiN2at4cuda3cub6detail10OpaqueTypeILi4EEEEEmEEvPT0_.has_recursion, 0
	.set _ZN7rocprim17ROCPRIM_304000_NS6detail31onesweep_scan_histograms_kernelINS1_34wrapped_radix_sort_onesweep_configINS0_14default_configEiN2at4cuda3cub6detail10OpaqueTypeILi4EEEEEmEEvPT0_.has_indirect_call, 0
	.section	.AMDGPU.csdata,"",@progbits
; Kernel info:
; codeLenInByte = 916
; TotalNumSgprs: 16
; NumVgprs: 16
; NumAgprs: 0
; TotalNumVgprs: 16
; ScratchSize: 0
; MemoryBound: 0
; FloatMode: 240
; IeeeMode: 1
; LDSByteSize: 64 bytes/workgroup (compile time only)
; SGPRBlocks: 1
; VGPRBlocks: 1
; NumSGPRsForWavesPerEU: 16
; NumVGPRsForWavesPerEU: 16
; AccumOffset: 16
; Occupancy: 8
; WaveLimiterHint : 0
; COMPUTE_PGM_RSRC2:SCRATCH_EN: 0
; COMPUTE_PGM_RSRC2:USER_SGPR: 2
; COMPUTE_PGM_RSRC2:TRAP_HANDLER: 0
; COMPUTE_PGM_RSRC2:TGID_X_EN: 1
; COMPUTE_PGM_RSRC2:TGID_Y_EN: 0
; COMPUTE_PGM_RSRC2:TGID_Z_EN: 0
; COMPUTE_PGM_RSRC2:TIDIG_COMP_CNT: 0
; COMPUTE_PGM_RSRC3_GFX90A:ACCUM_OFFSET: 3
; COMPUTE_PGM_RSRC3_GFX90A:TG_SPLIT: 0
	.section	.text._ZN7rocprim17ROCPRIM_304000_NS6detail16transform_kernelINS1_24wrapped_transform_configINS0_14default_configEiEEiPKiPiNS0_8identityIiEEEEvT1_mT2_T3_,"axG",@progbits,_ZN7rocprim17ROCPRIM_304000_NS6detail16transform_kernelINS1_24wrapped_transform_configINS0_14default_configEiEEiPKiPiNS0_8identityIiEEEEvT1_mT2_T3_,comdat
	.protected	_ZN7rocprim17ROCPRIM_304000_NS6detail16transform_kernelINS1_24wrapped_transform_configINS0_14default_configEiEEiPKiPiNS0_8identityIiEEEEvT1_mT2_T3_ ; -- Begin function _ZN7rocprim17ROCPRIM_304000_NS6detail16transform_kernelINS1_24wrapped_transform_configINS0_14default_configEiEEiPKiPiNS0_8identityIiEEEEvT1_mT2_T3_
	.globl	_ZN7rocprim17ROCPRIM_304000_NS6detail16transform_kernelINS1_24wrapped_transform_configINS0_14default_configEiEEiPKiPiNS0_8identityIiEEEEvT1_mT2_T3_
	.p2align	8
	.type	_ZN7rocprim17ROCPRIM_304000_NS6detail16transform_kernelINS1_24wrapped_transform_configINS0_14default_configEiEEiPKiPiNS0_8identityIiEEEEvT1_mT2_T3_,@function
_ZN7rocprim17ROCPRIM_304000_NS6detail16transform_kernelINS1_24wrapped_transform_configINS0_14default_configEiEEiPKiPiNS0_8identityIiEEEEvT1_mT2_T3_: ; @_ZN7rocprim17ROCPRIM_304000_NS6detail16transform_kernelINS1_24wrapped_transform_configINS0_14default_configEiEEiPKiPiNS0_8identityIiEEEEvT1_mT2_T3_
; %bb.0:
	s_load_dword s3, s[0:1], 0x20
	s_load_dwordx4 s[4:7], s[0:1], 0x0
	s_load_dwordx2 s[8:9], s[0:1], 0x10
	s_lshl_b32 s0, s2, 8
	s_mov_b32 s1, 0
	s_waitcnt lgkmcnt(0)
	s_add_i32 s3, s3, -1
	s_lshl_b64 s[10:11], s[0:1], 2
	s_add_u32 s4, s4, s10
	s_addc_u32 s5, s5, s11
	v_mov_b32_e32 v3, 0
	v_lshlrev_b32_e32 v2, 2, v0
	s_cmp_lg_u32 s2, s3
	v_lshl_add_u64 v[4:5], s[4:5], 0, v[2:3]
	s_cbranch_scc0 .LBB12_2
; %bb.1:
	global_load_dword v3, v[4:5], off
	global_load_dword v1, v[4:5], off offset:512
	s_add_u32 s2, s8, s10
	s_addc_u32 s3, s9, s11
	s_waitcnt vmcnt(1)
	global_store_dword v2, v3, s[2:3]
	s_mov_b64 s[2:3], -1
	s_cbranch_execz .LBB12_3
	s_branch .LBB12_10
.LBB12_2:
	s_mov_b64 s[2:3], 0
                                        ; implicit-def: $vgpr1
.LBB12_3:
	s_sub_i32 s4, s6, s0
	v_mov_b32_e32 v6, 0
	v_cmp_gt_u32_e32 vcc, s4, v0
	v_mov_b32_e32 v7, v6
	s_and_saveexec_b64 s[0:1], vcc
	s_cbranch_execz .LBB12_5
; %bb.4:
	global_load_dword v8, v[4:5], off
	v_mov_b32_e32 v9, v6
	s_waitcnt vmcnt(0)
	v_mov_b64_e32 v[6:7], v[8:9]
.LBB12_5:
	s_or_b64 exec, exec, s[0:1]
	v_or_b32_e32 v0, 0x80, v0
	v_cmp_gt_u32_e64 s[0:1], s4, v0
	s_and_saveexec_b64 s[4:5], s[0:1]
	s_cbranch_execnz .LBB12_13
; %bb.6:
	s_or_b64 exec, exec, s[4:5]
	v_cndmask_b32_e32 v0, 0, v6, vcc
	s_and_saveexec_b64 s[4:5], vcc
	s_cbranch_execnz .LBB12_14
.LBB12_7:
	s_or_b64 exec, exec, s[4:5]
                                        ; implicit-def: $vgpr1
	s_and_saveexec_b64 s[4:5], s[0:1]
	s_cbranch_execz .LBB12_9
.LBB12_8:
	s_waitcnt vmcnt(0)
	v_cndmask_b32_e64 v1, 0, v7, s[0:1]
	s_or_b64 s[2:3], s[2:3], exec
.LBB12_9:
	s_or_b64 exec, exec, s[4:5]
.LBB12_10:
	s_and_saveexec_b64 s[0:1], s[2:3]
	s_cbranch_execnz .LBB12_12
; %bb.11:
	s_endpgm
.LBB12_12:
	s_add_u32 s0, s8, s10
	s_addc_u32 s1, s9, s11
	s_waitcnt vmcnt(1)
	global_store_dword v2, v1, s[0:1] offset:512
	s_endpgm
.LBB12_13:
	global_load_dword v7, v[4:5], off offset:512
	s_or_b64 exec, exec, s[4:5]
	v_cndmask_b32_e32 v0, 0, v6, vcc
	s_and_saveexec_b64 s[4:5], vcc
	s_cbranch_execz .LBB12_7
.LBB12_14:
	s_add_u32 s6, s8, s10
	s_addc_u32 s7, s9, s11
	global_store_dword v2, v0, s[6:7]
	s_or_b64 exec, exec, s[4:5]
                                        ; implicit-def: $vgpr1
	s_and_saveexec_b64 s[4:5], s[0:1]
	s_cbranch_execnz .LBB12_8
	s_branch .LBB12_9
	.section	.rodata,"a",@progbits
	.p2align	6, 0x0
	.amdhsa_kernel _ZN7rocprim17ROCPRIM_304000_NS6detail16transform_kernelINS1_24wrapped_transform_configINS0_14default_configEiEEiPKiPiNS0_8identityIiEEEEvT1_mT2_T3_
		.amdhsa_group_segment_fixed_size 0
		.amdhsa_private_segment_fixed_size 0
		.amdhsa_kernarg_size 288
		.amdhsa_user_sgpr_count 2
		.amdhsa_user_sgpr_dispatch_ptr 0
		.amdhsa_user_sgpr_queue_ptr 0
		.amdhsa_user_sgpr_kernarg_segment_ptr 1
		.amdhsa_user_sgpr_dispatch_id 0
		.amdhsa_user_sgpr_kernarg_preload_length 0
		.amdhsa_user_sgpr_kernarg_preload_offset 0
		.amdhsa_user_sgpr_private_segment_size 0
		.amdhsa_uses_dynamic_stack 0
		.amdhsa_enable_private_segment 0
		.amdhsa_system_sgpr_workgroup_id_x 1
		.amdhsa_system_sgpr_workgroup_id_y 0
		.amdhsa_system_sgpr_workgroup_id_z 0
		.amdhsa_system_sgpr_workgroup_info 0
		.amdhsa_system_vgpr_workitem_id 0
		.amdhsa_next_free_vgpr 10
		.amdhsa_next_free_sgpr 12
		.amdhsa_accum_offset 12
		.amdhsa_reserve_vcc 1
		.amdhsa_float_round_mode_32 0
		.amdhsa_float_round_mode_16_64 0
		.amdhsa_float_denorm_mode_32 3
		.amdhsa_float_denorm_mode_16_64 3
		.amdhsa_dx10_clamp 1
		.amdhsa_ieee_mode 1
		.amdhsa_fp16_overflow 0
		.amdhsa_tg_split 0
		.amdhsa_exception_fp_ieee_invalid_op 0
		.amdhsa_exception_fp_denorm_src 0
		.amdhsa_exception_fp_ieee_div_zero 0
		.amdhsa_exception_fp_ieee_overflow 0
		.amdhsa_exception_fp_ieee_underflow 0
		.amdhsa_exception_fp_ieee_inexact 0
		.amdhsa_exception_int_div_zero 0
	.end_amdhsa_kernel
	.section	.text._ZN7rocprim17ROCPRIM_304000_NS6detail16transform_kernelINS1_24wrapped_transform_configINS0_14default_configEiEEiPKiPiNS0_8identityIiEEEEvT1_mT2_T3_,"axG",@progbits,_ZN7rocprim17ROCPRIM_304000_NS6detail16transform_kernelINS1_24wrapped_transform_configINS0_14default_configEiEEiPKiPiNS0_8identityIiEEEEvT1_mT2_T3_,comdat
.Lfunc_end12:
	.size	_ZN7rocprim17ROCPRIM_304000_NS6detail16transform_kernelINS1_24wrapped_transform_configINS0_14default_configEiEEiPKiPiNS0_8identityIiEEEEvT1_mT2_T3_, .Lfunc_end12-_ZN7rocprim17ROCPRIM_304000_NS6detail16transform_kernelINS1_24wrapped_transform_configINS0_14default_configEiEEiPKiPiNS0_8identityIiEEEEvT1_mT2_T3_
                                        ; -- End function
	.set _ZN7rocprim17ROCPRIM_304000_NS6detail16transform_kernelINS1_24wrapped_transform_configINS0_14default_configEiEEiPKiPiNS0_8identityIiEEEEvT1_mT2_T3_.num_vgpr, 10
	.set _ZN7rocprim17ROCPRIM_304000_NS6detail16transform_kernelINS1_24wrapped_transform_configINS0_14default_configEiEEiPKiPiNS0_8identityIiEEEEvT1_mT2_T3_.num_agpr, 0
	.set _ZN7rocprim17ROCPRIM_304000_NS6detail16transform_kernelINS1_24wrapped_transform_configINS0_14default_configEiEEiPKiPiNS0_8identityIiEEEEvT1_mT2_T3_.numbered_sgpr, 12
	.set _ZN7rocprim17ROCPRIM_304000_NS6detail16transform_kernelINS1_24wrapped_transform_configINS0_14default_configEiEEiPKiPiNS0_8identityIiEEEEvT1_mT2_T3_.num_named_barrier, 0
	.set _ZN7rocprim17ROCPRIM_304000_NS6detail16transform_kernelINS1_24wrapped_transform_configINS0_14default_configEiEEiPKiPiNS0_8identityIiEEEEvT1_mT2_T3_.private_seg_size, 0
	.set _ZN7rocprim17ROCPRIM_304000_NS6detail16transform_kernelINS1_24wrapped_transform_configINS0_14default_configEiEEiPKiPiNS0_8identityIiEEEEvT1_mT2_T3_.uses_vcc, 1
	.set _ZN7rocprim17ROCPRIM_304000_NS6detail16transform_kernelINS1_24wrapped_transform_configINS0_14default_configEiEEiPKiPiNS0_8identityIiEEEEvT1_mT2_T3_.uses_flat_scratch, 0
	.set _ZN7rocprim17ROCPRIM_304000_NS6detail16transform_kernelINS1_24wrapped_transform_configINS0_14default_configEiEEiPKiPiNS0_8identityIiEEEEvT1_mT2_T3_.has_dyn_sized_stack, 0
	.set _ZN7rocprim17ROCPRIM_304000_NS6detail16transform_kernelINS1_24wrapped_transform_configINS0_14default_configEiEEiPKiPiNS0_8identityIiEEEEvT1_mT2_T3_.has_recursion, 0
	.set _ZN7rocprim17ROCPRIM_304000_NS6detail16transform_kernelINS1_24wrapped_transform_configINS0_14default_configEiEEiPKiPiNS0_8identityIiEEEEvT1_mT2_T3_.has_indirect_call, 0
	.section	.AMDGPU.csdata,"",@progbits
; Kernel info:
; codeLenInByte = 340
; TotalNumSgprs: 18
; NumVgprs: 10
; NumAgprs: 0
; TotalNumVgprs: 10
; ScratchSize: 0
; MemoryBound: 0
; FloatMode: 240
; IeeeMode: 1
; LDSByteSize: 0 bytes/workgroup (compile time only)
; SGPRBlocks: 2
; VGPRBlocks: 1
; NumSGPRsForWavesPerEU: 18
; NumVGPRsForWavesPerEU: 10
; AccumOffset: 12
; Occupancy: 8
; WaveLimiterHint : 1
; COMPUTE_PGM_RSRC2:SCRATCH_EN: 0
; COMPUTE_PGM_RSRC2:USER_SGPR: 2
; COMPUTE_PGM_RSRC2:TRAP_HANDLER: 0
; COMPUTE_PGM_RSRC2:TGID_X_EN: 1
; COMPUTE_PGM_RSRC2:TGID_Y_EN: 0
; COMPUTE_PGM_RSRC2:TGID_Z_EN: 0
; COMPUTE_PGM_RSRC2:TIDIG_COMP_CNT: 0
; COMPUTE_PGM_RSRC3_GFX90A:ACCUM_OFFSET: 2
; COMPUTE_PGM_RSRC3_GFX90A:TG_SPLIT: 0
	.section	.text._ZN7rocprim17ROCPRIM_304000_NS6detail16transform_kernelINS1_24wrapped_transform_configINS0_14default_configEN2at4cuda3cub6detail10OpaqueTypeILi4EEEEESA_PKSA_PSA_NS0_8identityISA_EEEEvT1_mT2_T3_,"axG",@progbits,_ZN7rocprim17ROCPRIM_304000_NS6detail16transform_kernelINS1_24wrapped_transform_configINS0_14default_configEN2at4cuda3cub6detail10OpaqueTypeILi4EEEEESA_PKSA_PSA_NS0_8identityISA_EEEEvT1_mT2_T3_,comdat
	.protected	_ZN7rocprim17ROCPRIM_304000_NS6detail16transform_kernelINS1_24wrapped_transform_configINS0_14default_configEN2at4cuda3cub6detail10OpaqueTypeILi4EEEEESA_PKSA_PSA_NS0_8identityISA_EEEEvT1_mT2_T3_ ; -- Begin function _ZN7rocprim17ROCPRIM_304000_NS6detail16transform_kernelINS1_24wrapped_transform_configINS0_14default_configEN2at4cuda3cub6detail10OpaqueTypeILi4EEEEESA_PKSA_PSA_NS0_8identityISA_EEEEvT1_mT2_T3_
	.globl	_ZN7rocprim17ROCPRIM_304000_NS6detail16transform_kernelINS1_24wrapped_transform_configINS0_14default_configEN2at4cuda3cub6detail10OpaqueTypeILi4EEEEESA_PKSA_PSA_NS0_8identityISA_EEEEvT1_mT2_T3_
	.p2align	8
	.type	_ZN7rocprim17ROCPRIM_304000_NS6detail16transform_kernelINS1_24wrapped_transform_configINS0_14default_configEN2at4cuda3cub6detail10OpaqueTypeILi4EEEEESA_PKSA_PSA_NS0_8identityISA_EEEEvT1_mT2_T3_,@function
_ZN7rocprim17ROCPRIM_304000_NS6detail16transform_kernelINS1_24wrapped_transform_configINS0_14default_configEN2at4cuda3cub6detail10OpaqueTypeILi4EEEEESA_PKSA_PSA_NS0_8identityISA_EEEEvT1_mT2_T3_: ; @_ZN7rocprim17ROCPRIM_304000_NS6detail16transform_kernelINS1_24wrapped_transform_configINS0_14default_configEN2at4cuda3cub6detail10OpaqueTypeILi4EEEEESA_PKSA_PSA_NS0_8identityISA_EEEEvT1_mT2_T3_
; %bb.0:
	s_load_dword s3, s[0:1], 0x20
	s_load_dwordx4 s[4:7], s[0:1], 0x0
	s_load_dwordx2 s[8:9], s[0:1], 0x10
	s_lshl_b32 s10, s2, 8
	s_mov_b32 s11, 0
	s_waitcnt lgkmcnt(0)
	s_add_i32 s3, s3, -1
	s_lshl_b64 s[0:1], s[10:11], 2
	s_add_u32 s4, s4, s0
	s_addc_u32 s5, s5, s1
	v_mov_b32_e32 v3, 0
	v_lshlrev_b32_e32 v2, 2, v0
	s_cmp_lg_u32 s2, s3
	v_lshl_add_u64 v[4:5], s[4:5], 0, v[2:3]
	s_cbranch_scc0 .LBB13_2
; %bb.1:
	global_load_dword v3, v[4:5], off
	global_load_dword v1, v[4:5], off offset:512
	s_add_u32 s2, s8, s0
	s_addc_u32 s3, s9, s1
	s_waitcnt vmcnt(1)
	global_store_dword v2, v3, s[2:3]
	s_mov_b64 s[2:3], -1
	s_cbranch_execz .LBB13_3
	s_branch .LBB13_10
.LBB13_2:
	s_mov_b64 s[2:3], 0
                                        ; implicit-def: $vgpr1
.LBB13_3:
	s_sub_i32 s4, s6, s10
	v_cmp_gt_u32_e32 vcc, s4, v0
                                        ; implicit-def: $vgpr3
	s_and_saveexec_b64 s[2:3], vcc
	s_cbranch_execz .LBB13_5
; %bb.4:
	global_load_dword v3, v[4:5], off
.LBB13_5:
	s_or_b64 exec, exec, s[2:3]
	v_or_b32_e32 v0, 0x80, v0
	v_cmp_gt_u32_e64 s[2:3], s4, v0
                                        ; implicit-def: $vgpr1
	s_and_saveexec_b64 s[4:5], s[2:3]
	s_cbranch_execz .LBB13_7
; %bb.6:
	global_load_dword v1, v[4:5], off offset:512
.LBB13_7:
	s_or_b64 exec, exec, s[4:5]
	s_and_saveexec_b64 s[4:5], vcc
	s_cbranch_execz .LBB13_9
; %bb.8:
	s_add_u32 s6, s8, s0
	s_addc_u32 s7, s9, s1
	s_waitcnt vmcnt(0)
	global_store_dword v2, v3, s[6:7]
.LBB13_9:
	s_or_b64 exec, exec, s[4:5]
.LBB13_10:
	s_and_saveexec_b64 s[4:5], s[2:3]
	s_cbranch_execnz .LBB13_12
; %bb.11:
	s_endpgm
.LBB13_12:
	s_add_u32 s0, s8, s0
	s_addc_u32 s1, s9, s1
	s_waitcnt vmcnt(0)
	global_store_dword v2, v1, s[0:1] offset:512
	s_endpgm
	.section	.rodata,"a",@progbits
	.p2align	6, 0x0
	.amdhsa_kernel _ZN7rocprim17ROCPRIM_304000_NS6detail16transform_kernelINS1_24wrapped_transform_configINS0_14default_configEN2at4cuda3cub6detail10OpaqueTypeILi4EEEEESA_PKSA_PSA_NS0_8identityISA_EEEEvT1_mT2_T3_
		.amdhsa_group_segment_fixed_size 0
		.amdhsa_private_segment_fixed_size 0
		.amdhsa_kernarg_size 288
		.amdhsa_user_sgpr_count 2
		.amdhsa_user_sgpr_dispatch_ptr 0
		.amdhsa_user_sgpr_queue_ptr 0
		.amdhsa_user_sgpr_kernarg_segment_ptr 1
		.amdhsa_user_sgpr_dispatch_id 0
		.amdhsa_user_sgpr_kernarg_preload_length 0
		.amdhsa_user_sgpr_kernarg_preload_offset 0
		.amdhsa_user_sgpr_private_segment_size 0
		.amdhsa_uses_dynamic_stack 0
		.amdhsa_enable_private_segment 0
		.amdhsa_system_sgpr_workgroup_id_x 1
		.amdhsa_system_sgpr_workgroup_id_y 0
		.amdhsa_system_sgpr_workgroup_id_z 0
		.amdhsa_system_sgpr_workgroup_info 0
		.amdhsa_system_vgpr_workitem_id 0
		.amdhsa_next_free_vgpr 6
		.amdhsa_next_free_sgpr 12
		.amdhsa_accum_offset 8
		.amdhsa_reserve_vcc 1
		.amdhsa_float_round_mode_32 0
		.amdhsa_float_round_mode_16_64 0
		.amdhsa_float_denorm_mode_32 3
		.amdhsa_float_denorm_mode_16_64 3
		.amdhsa_dx10_clamp 1
		.amdhsa_ieee_mode 1
		.amdhsa_fp16_overflow 0
		.amdhsa_tg_split 0
		.amdhsa_exception_fp_ieee_invalid_op 0
		.amdhsa_exception_fp_denorm_src 0
		.amdhsa_exception_fp_ieee_div_zero 0
		.amdhsa_exception_fp_ieee_overflow 0
		.amdhsa_exception_fp_ieee_underflow 0
		.amdhsa_exception_fp_ieee_inexact 0
		.amdhsa_exception_int_div_zero 0
	.end_amdhsa_kernel
	.section	.text._ZN7rocprim17ROCPRIM_304000_NS6detail16transform_kernelINS1_24wrapped_transform_configINS0_14default_configEN2at4cuda3cub6detail10OpaqueTypeILi4EEEEESA_PKSA_PSA_NS0_8identityISA_EEEEvT1_mT2_T3_,"axG",@progbits,_ZN7rocprim17ROCPRIM_304000_NS6detail16transform_kernelINS1_24wrapped_transform_configINS0_14default_configEN2at4cuda3cub6detail10OpaqueTypeILi4EEEEESA_PKSA_PSA_NS0_8identityISA_EEEEvT1_mT2_T3_,comdat
.Lfunc_end13:
	.size	_ZN7rocprim17ROCPRIM_304000_NS6detail16transform_kernelINS1_24wrapped_transform_configINS0_14default_configEN2at4cuda3cub6detail10OpaqueTypeILi4EEEEESA_PKSA_PSA_NS0_8identityISA_EEEEvT1_mT2_T3_, .Lfunc_end13-_ZN7rocprim17ROCPRIM_304000_NS6detail16transform_kernelINS1_24wrapped_transform_configINS0_14default_configEN2at4cuda3cub6detail10OpaqueTypeILi4EEEEESA_PKSA_PSA_NS0_8identityISA_EEEEvT1_mT2_T3_
                                        ; -- End function
	.set _ZN7rocprim17ROCPRIM_304000_NS6detail16transform_kernelINS1_24wrapped_transform_configINS0_14default_configEN2at4cuda3cub6detail10OpaqueTypeILi4EEEEESA_PKSA_PSA_NS0_8identityISA_EEEEvT1_mT2_T3_.num_vgpr, 6
	.set _ZN7rocprim17ROCPRIM_304000_NS6detail16transform_kernelINS1_24wrapped_transform_configINS0_14default_configEN2at4cuda3cub6detail10OpaqueTypeILi4EEEEESA_PKSA_PSA_NS0_8identityISA_EEEEvT1_mT2_T3_.num_agpr, 0
	.set _ZN7rocprim17ROCPRIM_304000_NS6detail16transform_kernelINS1_24wrapped_transform_configINS0_14default_configEN2at4cuda3cub6detail10OpaqueTypeILi4EEEEESA_PKSA_PSA_NS0_8identityISA_EEEEvT1_mT2_T3_.numbered_sgpr, 12
	.set _ZN7rocprim17ROCPRIM_304000_NS6detail16transform_kernelINS1_24wrapped_transform_configINS0_14default_configEN2at4cuda3cub6detail10OpaqueTypeILi4EEEEESA_PKSA_PSA_NS0_8identityISA_EEEEvT1_mT2_T3_.num_named_barrier, 0
	.set _ZN7rocprim17ROCPRIM_304000_NS6detail16transform_kernelINS1_24wrapped_transform_configINS0_14default_configEN2at4cuda3cub6detail10OpaqueTypeILi4EEEEESA_PKSA_PSA_NS0_8identityISA_EEEEvT1_mT2_T3_.private_seg_size, 0
	.set _ZN7rocprim17ROCPRIM_304000_NS6detail16transform_kernelINS1_24wrapped_transform_configINS0_14default_configEN2at4cuda3cub6detail10OpaqueTypeILi4EEEEESA_PKSA_PSA_NS0_8identityISA_EEEEvT1_mT2_T3_.uses_vcc, 1
	.set _ZN7rocprim17ROCPRIM_304000_NS6detail16transform_kernelINS1_24wrapped_transform_configINS0_14default_configEN2at4cuda3cub6detail10OpaqueTypeILi4EEEEESA_PKSA_PSA_NS0_8identityISA_EEEEvT1_mT2_T3_.uses_flat_scratch, 0
	.set _ZN7rocprim17ROCPRIM_304000_NS6detail16transform_kernelINS1_24wrapped_transform_configINS0_14default_configEN2at4cuda3cub6detail10OpaqueTypeILi4EEEEESA_PKSA_PSA_NS0_8identityISA_EEEEvT1_mT2_T3_.has_dyn_sized_stack, 0
	.set _ZN7rocprim17ROCPRIM_304000_NS6detail16transform_kernelINS1_24wrapped_transform_configINS0_14default_configEN2at4cuda3cub6detail10OpaqueTypeILi4EEEEESA_PKSA_PSA_NS0_8identityISA_EEEEvT1_mT2_T3_.has_recursion, 0
	.set _ZN7rocprim17ROCPRIM_304000_NS6detail16transform_kernelINS1_24wrapped_transform_configINS0_14default_configEN2at4cuda3cub6detail10OpaqueTypeILi4EEEEESA_PKSA_PSA_NS0_8identityISA_EEEEvT1_mT2_T3_.has_indirect_call, 0
	.section	.AMDGPU.csdata,"",@progbits
; Kernel info:
; codeLenInByte = 260
; TotalNumSgprs: 18
; NumVgprs: 6
; NumAgprs: 0
; TotalNumVgprs: 6
; ScratchSize: 0
; MemoryBound: 0
; FloatMode: 240
; IeeeMode: 1
; LDSByteSize: 0 bytes/workgroup (compile time only)
; SGPRBlocks: 2
; VGPRBlocks: 0
; NumSGPRsForWavesPerEU: 18
; NumVGPRsForWavesPerEU: 6
; AccumOffset: 8
; Occupancy: 8
; WaveLimiterHint : 1
; COMPUTE_PGM_RSRC2:SCRATCH_EN: 0
; COMPUTE_PGM_RSRC2:USER_SGPR: 2
; COMPUTE_PGM_RSRC2:TRAP_HANDLER: 0
; COMPUTE_PGM_RSRC2:TGID_X_EN: 1
; COMPUTE_PGM_RSRC2:TGID_Y_EN: 0
; COMPUTE_PGM_RSRC2:TGID_Z_EN: 0
; COMPUTE_PGM_RSRC2:TIDIG_COMP_CNT: 0
; COMPUTE_PGM_RSRC3_GFX90A:ACCUM_OFFSET: 1
; COMPUTE_PGM_RSRC3_GFX90A:TG_SPLIT: 0
	.section	.text._ZN7rocprim17ROCPRIM_304000_NS6detail25onesweep_iteration_kernelINS1_34wrapped_radix_sort_onesweep_configINS0_14default_configEiN2at4cuda3cub6detail10OpaqueTypeILi4EEEEELb1EPKiPiPKSA_PSA_mNS0_19identity_decomposerEEEvT1_T2_T3_T4_jPT5_SO_PNS1_23onesweep_lookback_stateET6_jjj,"axG",@progbits,_ZN7rocprim17ROCPRIM_304000_NS6detail25onesweep_iteration_kernelINS1_34wrapped_radix_sort_onesweep_configINS0_14default_configEiN2at4cuda3cub6detail10OpaqueTypeILi4EEEEELb1EPKiPiPKSA_PSA_mNS0_19identity_decomposerEEEvT1_T2_T3_T4_jPT5_SO_PNS1_23onesweep_lookback_stateET6_jjj,comdat
	.protected	_ZN7rocprim17ROCPRIM_304000_NS6detail25onesweep_iteration_kernelINS1_34wrapped_radix_sort_onesweep_configINS0_14default_configEiN2at4cuda3cub6detail10OpaqueTypeILi4EEEEELb1EPKiPiPKSA_PSA_mNS0_19identity_decomposerEEEvT1_T2_T3_T4_jPT5_SO_PNS1_23onesweep_lookback_stateET6_jjj ; -- Begin function _ZN7rocprim17ROCPRIM_304000_NS6detail25onesweep_iteration_kernelINS1_34wrapped_radix_sort_onesweep_configINS0_14default_configEiN2at4cuda3cub6detail10OpaqueTypeILi4EEEEELb1EPKiPiPKSA_PSA_mNS0_19identity_decomposerEEEvT1_T2_T3_T4_jPT5_SO_PNS1_23onesweep_lookback_stateET6_jjj
	.globl	_ZN7rocprim17ROCPRIM_304000_NS6detail25onesweep_iteration_kernelINS1_34wrapped_radix_sort_onesweep_configINS0_14default_configEiN2at4cuda3cub6detail10OpaqueTypeILi4EEEEELb1EPKiPiPKSA_PSA_mNS0_19identity_decomposerEEEvT1_T2_T3_T4_jPT5_SO_PNS1_23onesweep_lookback_stateET6_jjj
	.p2align	8
	.type	_ZN7rocprim17ROCPRIM_304000_NS6detail25onesweep_iteration_kernelINS1_34wrapped_radix_sort_onesweep_configINS0_14default_configEiN2at4cuda3cub6detail10OpaqueTypeILi4EEEEELb1EPKiPiPKSA_PSA_mNS0_19identity_decomposerEEEvT1_T2_T3_T4_jPT5_SO_PNS1_23onesweep_lookback_stateET6_jjj,@function
_ZN7rocprim17ROCPRIM_304000_NS6detail25onesweep_iteration_kernelINS1_34wrapped_radix_sort_onesweep_configINS0_14default_configEiN2at4cuda3cub6detail10OpaqueTypeILi4EEEEELb1EPKiPiPKSA_PSA_mNS0_19identity_decomposerEEEvT1_T2_T3_T4_jPT5_SO_PNS1_23onesweep_lookback_stateET6_jjj: ; @_ZN7rocprim17ROCPRIM_304000_NS6detail25onesweep_iteration_kernelINS1_34wrapped_radix_sort_onesweep_configINS0_14default_configEiN2at4cuda3cub6detail10OpaqueTypeILi4EEEEELb1EPKiPiPKSA_PSA_mNS0_19identity_decomposerEEEvT1_T2_T3_T4_jPT5_SO_PNS1_23onesweep_lookback_stateET6_jjj
; %bb.0:
	s_load_dwordx4 s[68:71], s[0:1], 0x44
	s_load_dwordx8 s[56:63], s[0:1], 0x0
	s_load_dwordx4 s[64:67], s[0:1], 0x28
	s_load_dwordx2 s[54:55], s[0:1], 0x38
	s_mov_b64 s[4:5], -1
	s_waitcnt lgkmcnt(0)
	s_cmp_ge_u32 s2, s70
	s_mul_i32 s72, s2, 0x1800
	v_mbcnt_lo_u32_b32 v1, -1, 0
	s_cbranch_scc0 .LBB14_168
; %bb.1:
	s_load_dword s3, s[0:1], 0x20
	s_mul_i32 s4, s70, 0xffffe800
	s_mov_b32 s73, 0
	s_lshl_b64 s[70:71], s[72:73], 2
	v_mbcnt_hi_u32_b32 v15, -1, v1
	s_waitcnt lgkmcnt(0)
	s_add_i32 s73, s4, s3
	s_add_u32 s4, s56, s70
	v_and_b32_e32 v24, 0x1c0, v0
	s_addc_u32 s5, s57, s71
	v_mul_u32_u24_e32 v8, 12, v24
	v_mov_b32_e32 v5, 0
	v_lshlrev_b32_e32 v4, 2, v15
	v_lshl_add_u64 v[2:3], s[4:5], 0, v[4:5]
	v_lshlrev_b32_e32 v6, 2, v8
	v_mov_b32_e32 v7, v5
	v_or_b32_e32 v10, v15, v8
	v_mov_b32_e32 v9, -1
	v_lshl_add_u64 v[2:3], v[2:3], 0, v[6:7]
	v_cmp_gt_u32_e32 vcc, s73, v10
	v_mov_b32_e32 v5, -1
	s_and_saveexec_b64 s[4:5], vcc
	s_cbranch_execz .LBB14_3
; %bb.2:
	global_load_dword v5, v[2:3], off
	s_waitcnt vmcnt(0)
	v_xor_b32_e32 v5, 0x7fffffff, v5
.LBB14_3:
	s_or_b64 exec, exec, s[4:5]
	v_add_u32_e32 v7, 64, v10
	v_cmp_gt_u32_e64 s[52:53], s73, v7
	s_and_saveexec_b64 s[4:5], s[52:53]
	s_cbranch_execz .LBB14_5
; %bb.4:
	global_load_dword v7, v[2:3], off offset:256
	s_waitcnt vmcnt(0)
	v_xor_b32_e32 v9, 0x7fffffff, v7
.LBB14_5:
	s_or_b64 exec, exec, s[4:5]
	v_add_u32_e32 v7, 0x80, v10
	v_cmp_gt_u32_e64 s[4:5], s73, v7
	v_mov_b32_e32 v7, -1
	v_mov_b32_e32 v14, -1
	s_and_saveexec_b64 s[6:7], s[4:5]
	s_cbranch_execz .LBB14_7
; %bb.6:
	global_load_dword v8, v[2:3], off offset:512
	s_waitcnt vmcnt(0)
	v_xor_b32_e32 v14, 0x7fffffff, v8
.LBB14_7:
	s_or_b64 exec, exec, s[6:7]
	v_add_u32_e32 v8, 0xc0, v10
	v_cmp_gt_u32_e64 s[6:7], s73, v8
	s_and_saveexec_b64 s[8:9], s[6:7]
	s_cbranch_execz .LBB14_9
; %bb.8:
	global_load_dword v7, v[2:3], off offset:768
	s_waitcnt vmcnt(0)
	v_xor_b32_e32 v7, 0x7fffffff, v7
.LBB14_9:
	s_or_b64 exec, exec, s[8:9]
	v_add_u32_e32 v8, 0x100, v10
	v_cmp_gt_u32_e64 s[8:9], s73, v8
	v_mov_b32_e32 v16, -1
	v_mov_b32_e32 v17, -1
	s_and_saveexec_b64 s[10:11], s[8:9]
	s_cbranch_execz .LBB14_11
; %bb.10:
	global_load_dword v8, v[2:3], off offset:1024
	s_waitcnt vmcnt(0)
	v_xor_b32_e32 v17, 0x7fffffff, v8
.LBB14_11:
	;; [unrolled: 22-line block ×5, first 2 shown]
	s_or_b64 exec, exec, s[22:23]
	v_add_u32_e32 v10, 0x2c0, v10
	v_and_b32_e32 v8, 0x3ff, v0
	v_cmp_gt_u32_e64 s[22:23], s73, v10
	s_and_saveexec_b64 s[24:25], s[22:23]
	s_cbranch_execz .LBB14_25
; %bb.24:
	global_load_dword v2, v[2:3], off offset:2816
	s_waitcnt vmcnt(0)
	v_xor_b32_e32 v22, 0x7fffffff, v2
.LBB14_25:
	s_or_b64 exec, exec, s[24:25]
	s_load_dword s24, s[0:1], 0x5c
	s_load_dword s3, s[0:1], 0x50
	s_add_u32 s25, s0, 0x50
	s_addc_u32 s26, s1, 0
	v_mov_b32_e32 v11, 0
	s_waitcnt lgkmcnt(0)
	s_lshr_b32 s27, s24, 16
	s_cmp_lt_u32 s2, s3
	s_cselect_b32 s24, 12, 18
	s_add_u32 s24, s25, s24
	s_addc_u32 s25, s26, 0
	global_load_ushort v25, v11, s[24:25]
	v_bfe_u32 v3, v0, 10, 10
	v_bfe_u32 v10, v0, 20, 10
	v_lshrrev_b32_e32 v13, s68, v5
	s_lshl_b32 s24, -1, s69
	v_mad_u32_u24 v34, v10, s27, v3
	v_bitop3_b32 v3, v13, s24, v13 bitop3:0x30
	v_and_b32_e32 v10, 1, v3
	v_lshlrev_b32_e32 v13, 30, v3
	v_mov_b32_e32 v12, v11
	v_mov_b32_e32 v26, v11
	s_not_b32 s33, s24
	v_mul_lo_u32 v35, v3, 36
	v_lshlrev_b32_e32 v27, 29, v3
	v_lshlrev_b32_e32 v29, 28, v3
	;; [unrolled: 1-line block ×3, first 2 shown]
	v_lshl_add_u64 v[32:33], v[10:11], 0, -1
	v_cmp_ne_u32_e64 s[24:25], 0, v10
	v_not_b32_e32 v3, v13
	v_mov_b32_e32 v28, v11
	v_cmp_gt_i64_e64 s[26:27], 0, v[12:13]
	v_cmp_gt_i64_e64 s[28:29], 0, v[26:27]
	v_not_b32_e32 v10, v27
	v_xor_b32_e32 v27, s24, v32
	v_ashrrev_i32_e32 v3, 31, v3
	v_mov_b32_e32 v30, v11
	v_cmp_gt_i64_e64 s[30:31], 0, v[28:29]
	v_not_b32_e32 v12, v29
	v_not_b32_e32 v13, v31
	v_xor_b32_e32 v26, s25, v33
	v_ashrrev_i32_e32 v10, 31, v10
	v_and_b32_e32 v27, exec_lo, v27
	v_xor_b32_e32 v28, s27, v3
	v_xor_b32_e32 v3, s26, v3
	v_cmp_gt_i64_e64 s[34:35], 0, v[30:31]
	v_ashrrev_i32_e32 v12, 31, v12
	v_ashrrev_i32_e32 v13, 31, v13
	v_and_b32_e32 v26, exec_hi, v26
	v_xor_b32_e32 v29, s29, v10
	v_xor_b32_e32 v10, s28, v10
	v_and_b32_e32 v3, v27, v3
	v_xor_b32_e32 v30, s31, v12
	v_xor_b32_e32 v12, s30, v12
	;; [unrolled: 1-line block ×4, first 2 shown]
	v_and_b32_e32 v13, v26, v28
	v_and_b32_e32 v3, v3, v10
	;; [unrolled: 1-line block ×7, first 2 shown]
	v_mbcnt_lo_u32_b32 v3, v12, 0
	v_mbcnt_hi_u32_b32 v3, v13, v3
	v_cmp_ne_u64_e64 s[24:25], 0, v[12:13]
	v_cmp_eq_u32_e64 s[26:27], 0, v3
	v_lshlrev_b32_e32 v2, 2, v8
	s_and_b64 s[26:27], s[24:25], s[26:27]
	ds_write_b32 v2, v11 offset:32
	s_waitcnt lgkmcnt(0)
	s_barrier
	s_waitcnt vmcnt(0)
	; wave barrier
	v_mad_u64_u32 v[26:27], s[28:29], v34, v25, v[8:9]
	v_lshrrev_b32_e32 v34, 6, v26
	v_lshl_add_u32 v26, v34, 2, v35
	s_and_saveexec_b64 s[24:25], s[26:27]
; %bb.26:
	v_bcnt_u32_b32 v10, v12, 0
	v_bcnt_u32_b32 v10, v13, v10
	ds_write_b32 v26, v10 offset:32
; %bb.27:
	s_or_b64 exec, exec, s[24:25]
	v_lshrrev_b32_e32 v10, s68, v9
	v_and_b32_e32 v27, s33, v10
	v_mul_lo_u32 v10, v27, 36
	v_lshl_add_u32 v28, v34, 2, v10
	v_and_b32_e32 v10, 1, v27
	v_lshl_add_u64 v[12:13], v[10:11], 0, -1
	v_cmp_ne_u32_e64 s[24:25], 0, v10
	; wave barrier
	s_nop 1
	v_xor_b32_e32 v12, s24, v12
	v_xor_b32_e32 v10, s25, v13
	v_and_b32_e32 v29, exec_lo, v12
	v_lshlrev_b32_e32 v13, 30, v27
	v_mov_b32_e32 v12, v11
	v_cmp_gt_i64_e64 s[24:25], 0, v[12:13]
	v_not_b32_e32 v12, v13
	v_ashrrev_i32_e32 v12, 31, v12
	v_and_b32_e32 v10, exec_hi, v10
	v_xor_b32_e32 v13, s25, v12
	v_xor_b32_e32 v12, s24, v12
	v_and_b32_e32 v10, v10, v13
	v_and_b32_e32 v29, v29, v12
	v_lshlrev_b32_e32 v13, 29, v27
	v_mov_b32_e32 v12, v11
	v_cmp_gt_i64_e64 s[24:25], 0, v[12:13]
	v_not_b32_e32 v12, v13
	v_ashrrev_i32_e32 v12, 31, v12
	v_xor_b32_e32 v13, s25, v12
	v_xor_b32_e32 v12, s24, v12
	v_and_b32_e32 v10, v10, v13
	v_and_b32_e32 v29, v29, v12
	v_lshlrev_b32_e32 v13, 28, v27
	v_mov_b32_e32 v12, v11
	v_cmp_gt_i64_e64 s[24:25], 0, v[12:13]
	v_not_b32_e32 v12, v13
	v_ashrrev_i32_e32 v12, 31, v12
	v_xor_b32_e32 v13, s25, v12
	v_xor_b32_e32 v12, s24, v12
	v_and_b32_e32 v10, v10, v13
	v_lshlrev_b32_e32 v13, 27, v27
	v_and_b32_e32 v29, v29, v12
	v_mov_b32_e32 v12, v11
	v_not_b32_e32 v11, v13
	v_cmp_gt_i64_e64 s[24:25], 0, v[12:13]
	v_ashrrev_i32_e32 v11, 31, v11
	ds_read_b32 v25, v28 offset:32
	v_xor_b32_e32 v12, s25, v11
	v_xor_b32_e32 v13, s24, v11
	v_and_b32_e32 v11, v10, v12
	v_and_b32_e32 v10, v29, v13
	v_mbcnt_lo_u32_b32 v12, v10, 0
	v_mbcnt_hi_u32_b32 v27, v11, v12
	v_cmp_eq_u32_e64 s[24:25], 0, v27
	v_cmp_ne_u64_e64 s[26:27], 0, v[10:11]
	s_and_b64 s[26:27], s[26:27], s[24:25]
	; wave barrier
	s_and_saveexec_b64 s[24:25], s[26:27]
	s_cbranch_execz .LBB14_29
; %bb.28:
	v_bcnt_u32_b32 v10, v10, 0
	v_bcnt_u32_b32 v10, v11, v10
	s_waitcnt lgkmcnt(0)
	v_add_u32_e32 v10, v25, v10
	ds_write_b32 v28, v10 offset:32
.LBB14_29:
	s_or_b64 exec, exec, s[24:25]
	v_lshrrev_b32_e32 v10, s68, v14
	v_and_b32_e32 v30, s33, v10
	v_mul_lo_u32 v10, v30, 36
	v_lshl_add_u32 v31, v34, 2, v10
	v_and_b32_e32 v10, 1, v30
	v_mov_b32_e32 v11, 0
	v_lshl_add_u64 v[12:13], v[10:11], 0, -1
	v_cmp_ne_u32_e64 s[24:25], 0, v10
	; wave barrier
	s_nop 1
	v_xor_b32_e32 v12, s24, v12
	v_xor_b32_e32 v10, s25, v13
	v_and_b32_e32 v32, exec_lo, v12
	v_lshlrev_b32_e32 v13, 30, v30
	v_mov_b32_e32 v12, v11
	v_cmp_gt_i64_e64 s[24:25], 0, v[12:13]
	v_not_b32_e32 v12, v13
	v_ashrrev_i32_e32 v12, 31, v12
	v_and_b32_e32 v10, exec_hi, v10
	v_xor_b32_e32 v13, s25, v12
	v_xor_b32_e32 v12, s24, v12
	v_and_b32_e32 v10, v10, v13
	v_and_b32_e32 v32, v32, v12
	v_lshlrev_b32_e32 v13, 29, v30
	v_mov_b32_e32 v12, v11
	v_cmp_gt_i64_e64 s[24:25], 0, v[12:13]
	v_not_b32_e32 v12, v13
	v_ashrrev_i32_e32 v12, 31, v12
	v_xor_b32_e32 v13, s25, v12
	v_xor_b32_e32 v12, s24, v12
	v_and_b32_e32 v10, v10, v13
	v_and_b32_e32 v32, v32, v12
	v_lshlrev_b32_e32 v13, 28, v30
	v_mov_b32_e32 v12, v11
	v_cmp_gt_i64_e64 s[24:25], 0, v[12:13]
	v_not_b32_e32 v12, v13
	v_ashrrev_i32_e32 v12, 31, v12
	;; [unrolled: 9-line block ×3, first 2 shown]
	v_xor_b32_e32 v13, s25, v12
	v_xor_b32_e32 v12, s24, v12
	ds_read_b32 v29, v31 offset:32
	v_and_b32_e32 v12, v32, v12
	v_and_b32_e32 v13, v10, v13
	v_mbcnt_lo_u32_b32 v10, v12, 0
	v_mbcnt_hi_u32_b32 v30, v13, v10
	v_cmp_eq_u32_e64 s[24:25], 0, v30
	v_cmp_ne_u64_e64 s[26:27], 0, v[12:13]
	s_and_b64 s[26:27], s[26:27], s[24:25]
	; wave barrier
	s_and_saveexec_b64 s[24:25], s[26:27]
	s_cbranch_execz .LBB14_31
; %bb.30:
	v_bcnt_u32_b32 v10, v12, 0
	v_bcnt_u32_b32 v10, v13, v10
	s_waitcnt lgkmcnt(0)
	v_add_u32_e32 v10, v29, v10
	ds_write_b32 v31, v10 offset:32
.LBB14_31:
	s_or_b64 exec, exec, s[24:25]
	v_lshrrev_b32_e32 v10, s68, v7
	v_and_b32_e32 v33, s33, v10
	v_mul_lo_u32 v10, v33, 36
	v_lshl_add_u32 v35, v34, 2, v10
	v_and_b32_e32 v10, 1, v33
	v_lshl_add_u64 v[12:13], v[10:11], 0, -1
	v_cmp_ne_u32_e64 s[24:25], 0, v10
	; wave barrier
	s_nop 1
	v_xor_b32_e32 v12, s24, v12
	v_xor_b32_e32 v10, s25, v13
	v_and_b32_e32 v36, exec_lo, v12
	v_lshlrev_b32_e32 v13, 30, v33
	v_mov_b32_e32 v12, v11
	v_cmp_gt_i64_e64 s[24:25], 0, v[12:13]
	v_not_b32_e32 v12, v13
	v_ashrrev_i32_e32 v12, 31, v12
	v_and_b32_e32 v10, exec_hi, v10
	v_xor_b32_e32 v13, s25, v12
	v_xor_b32_e32 v12, s24, v12
	v_and_b32_e32 v10, v10, v13
	v_and_b32_e32 v36, v36, v12
	v_lshlrev_b32_e32 v13, 29, v33
	v_mov_b32_e32 v12, v11
	v_cmp_gt_i64_e64 s[24:25], 0, v[12:13]
	v_not_b32_e32 v12, v13
	v_ashrrev_i32_e32 v12, 31, v12
	v_xor_b32_e32 v13, s25, v12
	v_xor_b32_e32 v12, s24, v12
	v_and_b32_e32 v10, v10, v13
	v_and_b32_e32 v36, v36, v12
	v_lshlrev_b32_e32 v13, 28, v33
	v_mov_b32_e32 v12, v11
	v_cmp_gt_i64_e64 s[24:25], 0, v[12:13]
	v_not_b32_e32 v12, v13
	v_ashrrev_i32_e32 v12, 31, v12
	v_xor_b32_e32 v13, s25, v12
	v_xor_b32_e32 v12, s24, v12
	v_and_b32_e32 v10, v10, v13
	v_lshlrev_b32_e32 v13, 27, v33
	v_and_b32_e32 v36, v36, v12
	v_mov_b32_e32 v12, v11
	v_not_b32_e32 v11, v13
	v_cmp_gt_i64_e64 s[24:25], 0, v[12:13]
	v_ashrrev_i32_e32 v11, 31, v11
	ds_read_b32 v32, v35 offset:32
	v_xor_b32_e32 v12, s25, v11
	v_xor_b32_e32 v13, s24, v11
	v_and_b32_e32 v11, v10, v12
	v_and_b32_e32 v10, v36, v13
	v_mbcnt_lo_u32_b32 v12, v10, 0
	v_mbcnt_hi_u32_b32 v33, v11, v12
	v_cmp_eq_u32_e64 s[24:25], 0, v33
	v_cmp_ne_u64_e64 s[26:27], 0, v[10:11]
	s_and_b64 s[26:27], s[26:27], s[24:25]
	; wave barrier
	s_and_saveexec_b64 s[24:25], s[26:27]
	s_cbranch_execz .LBB14_33
; %bb.32:
	v_bcnt_u32_b32 v10, v10, 0
	v_bcnt_u32_b32 v10, v11, v10
	s_waitcnt lgkmcnt(0)
	v_add_u32_e32 v10, v32, v10
	ds_write_b32 v35, v10 offset:32
.LBB14_33:
	s_or_b64 exec, exec, s[24:25]
	v_lshrrev_b32_e32 v10, s68, v17
	v_and_b32_e32 v37, s33, v10
	v_mul_lo_u32 v10, v37, 36
	v_lshl_add_u32 v39, v34, 2, v10
	v_and_b32_e32 v10, 1, v37
	v_mov_b32_e32 v11, 0
	v_lshl_add_u64 v[12:13], v[10:11], 0, -1
	v_cmp_ne_u32_e64 s[24:25], 0, v10
	; wave barrier
	s_nop 1
	v_xor_b32_e32 v12, s24, v12
	v_xor_b32_e32 v10, s25, v13
	v_and_b32_e32 v38, exec_lo, v12
	v_lshlrev_b32_e32 v13, 30, v37
	v_mov_b32_e32 v12, v11
	v_cmp_gt_i64_e64 s[24:25], 0, v[12:13]
	v_not_b32_e32 v12, v13
	v_ashrrev_i32_e32 v12, 31, v12
	v_and_b32_e32 v10, exec_hi, v10
	v_xor_b32_e32 v13, s25, v12
	v_xor_b32_e32 v12, s24, v12
	v_and_b32_e32 v10, v10, v13
	v_and_b32_e32 v38, v38, v12
	v_lshlrev_b32_e32 v13, 29, v37
	v_mov_b32_e32 v12, v11
	v_cmp_gt_i64_e64 s[24:25], 0, v[12:13]
	v_not_b32_e32 v12, v13
	v_ashrrev_i32_e32 v12, 31, v12
	v_xor_b32_e32 v13, s25, v12
	v_xor_b32_e32 v12, s24, v12
	v_and_b32_e32 v10, v10, v13
	v_and_b32_e32 v38, v38, v12
	v_lshlrev_b32_e32 v13, 28, v37
	v_mov_b32_e32 v12, v11
	v_cmp_gt_i64_e64 s[24:25], 0, v[12:13]
	v_not_b32_e32 v12, v13
	v_ashrrev_i32_e32 v12, 31, v12
	;; [unrolled: 9-line block ×3, first 2 shown]
	v_xor_b32_e32 v13, s25, v12
	v_xor_b32_e32 v12, s24, v12
	ds_read_b32 v36, v39 offset:32
	v_and_b32_e32 v12, v38, v12
	v_and_b32_e32 v13, v10, v13
	v_mbcnt_lo_u32_b32 v10, v12, 0
	v_mbcnt_hi_u32_b32 v37, v13, v10
	v_cmp_eq_u32_e64 s[24:25], 0, v37
	v_cmp_ne_u64_e64 s[26:27], 0, v[12:13]
	s_and_b64 s[26:27], s[26:27], s[24:25]
	; wave barrier
	s_and_saveexec_b64 s[24:25], s[26:27]
	s_cbranch_execz .LBB14_35
; %bb.34:
	v_bcnt_u32_b32 v10, v12, 0
	v_bcnt_u32_b32 v10, v13, v10
	s_waitcnt lgkmcnt(0)
	v_add_u32_e32 v10, v36, v10
	ds_write_b32 v39, v10 offset:32
.LBB14_35:
	s_or_b64 exec, exec, s[24:25]
	v_lshrrev_b32_e32 v10, s68, v16
	v_and_b32_e32 v40, s33, v10
	v_mul_lo_u32 v10, v40, 36
	v_lshl_add_u32 v42, v34, 2, v10
	v_and_b32_e32 v10, 1, v40
	v_lshl_add_u64 v[12:13], v[10:11], 0, -1
	v_cmp_ne_u32_e64 s[24:25], 0, v10
	; wave barrier
	s_nop 1
	v_xor_b32_e32 v12, s24, v12
	v_xor_b32_e32 v10, s25, v13
	v_and_b32_e32 v41, exec_lo, v12
	v_lshlrev_b32_e32 v13, 30, v40
	v_mov_b32_e32 v12, v11
	v_cmp_gt_i64_e64 s[24:25], 0, v[12:13]
	v_not_b32_e32 v12, v13
	v_ashrrev_i32_e32 v12, 31, v12
	v_and_b32_e32 v10, exec_hi, v10
	v_xor_b32_e32 v13, s25, v12
	v_xor_b32_e32 v12, s24, v12
	v_and_b32_e32 v10, v10, v13
	v_and_b32_e32 v41, v41, v12
	v_lshlrev_b32_e32 v13, 29, v40
	v_mov_b32_e32 v12, v11
	v_cmp_gt_i64_e64 s[24:25], 0, v[12:13]
	v_not_b32_e32 v12, v13
	v_ashrrev_i32_e32 v12, 31, v12
	v_xor_b32_e32 v13, s25, v12
	v_xor_b32_e32 v12, s24, v12
	v_and_b32_e32 v10, v10, v13
	v_and_b32_e32 v41, v41, v12
	v_lshlrev_b32_e32 v13, 28, v40
	v_mov_b32_e32 v12, v11
	v_cmp_gt_i64_e64 s[24:25], 0, v[12:13]
	v_not_b32_e32 v12, v13
	v_ashrrev_i32_e32 v12, 31, v12
	v_xor_b32_e32 v13, s25, v12
	v_xor_b32_e32 v12, s24, v12
	v_and_b32_e32 v10, v10, v13
	v_lshlrev_b32_e32 v13, 27, v40
	v_and_b32_e32 v41, v41, v12
	v_mov_b32_e32 v12, v11
	v_not_b32_e32 v11, v13
	v_cmp_gt_i64_e64 s[24:25], 0, v[12:13]
	v_ashrrev_i32_e32 v11, 31, v11
	ds_read_b32 v38, v42 offset:32
	v_xor_b32_e32 v12, s25, v11
	v_xor_b32_e32 v13, s24, v11
	v_and_b32_e32 v11, v10, v12
	v_and_b32_e32 v10, v41, v13
	v_mbcnt_lo_u32_b32 v12, v10, 0
	v_mbcnt_hi_u32_b32 v40, v11, v12
	v_cmp_eq_u32_e64 s[24:25], 0, v40
	v_cmp_ne_u64_e64 s[26:27], 0, v[10:11]
	s_and_b64 s[26:27], s[26:27], s[24:25]
	; wave barrier
	s_and_saveexec_b64 s[24:25], s[26:27]
	s_cbranch_execz .LBB14_37
; %bb.36:
	v_bcnt_u32_b32 v10, v10, 0
	v_bcnt_u32_b32 v10, v11, v10
	s_waitcnt lgkmcnt(0)
	v_add_u32_e32 v10, v38, v10
	ds_write_b32 v42, v10 offset:32
.LBB14_37:
	s_or_b64 exec, exec, s[24:25]
	v_lshrrev_b32_e32 v10, s68, v19
	v_and_b32_e32 v43, s33, v10
	v_mul_lo_u32 v10, v43, 36
	v_lshl_add_u32 v45, v34, 2, v10
	v_and_b32_e32 v10, 1, v43
	v_mov_b32_e32 v11, 0
	v_lshl_add_u64 v[12:13], v[10:11], 0, -1
	v_cmp_ne_u32_e64 s[24:25], 0, v10
	; wave barrier
	s_nop 1
	v_xor_b32_e32 v12, s24, v12
	v_xor_b32_e32 v10, s25, v13
	v_and_b32_e32 v44, exec_lo, v12
	v_lshlrev_b32_e32 v13, 30, v43
	v_mov_b32_e32 v12, v11
	v_cmp_gt_i64_e64 s[24:25], 0, v[12:13]
	v_not_b32_e32 v12, v13
	v_ashrrev_i32_e32 v12, 31, v12
	v_and_b32_e32 v10, exec_hi, v10
	v_xor_b32_e32 v13, s25, v12
	v_xor_b32_e32 v12, s24, v12
	v_and_b32_e32 v10, v10, v13
	v_and_b32_e32 v44, v44, v12
	v_lshlrev_b32_e32 v13, 29, v43
	v_mov_b32_e32 v12, v11
	v_cmp_gt_i64_e64 s[24:25], 0, v[12:13]
	v_not_b32_e32 v12, v13
	v_ashrrev_i32_e32 v12, 31, v12
	v_xor_b32_e32 v13, s25, v12
	v_xor_b32_e32 v12, s24, v12
	v_and_b32_e32 v10, v10, v13
	v_and_b32_e32 v44, v44, v12
	v_lshlrev_b32_e32 v13, 28, v43
	v_mov_b32_e32 v12, v11
	v_cmp_gt_i64_e64 s[24:25], 0, v[12:13]
	v_not_b32_e32 v12, v13
	v_ashrrev_i32_e32 v12, 31, v12
	;; [unrolled: 9-line block ×3, first 2 shown]
	v_xor_b32_e32 v13, s25, v12
	v_xor_b32_e32 v12, s24, v12
	ds_read_b32 v41, v45 offset:32
	v_and_b32_e32 v12, v44, v12
	v_and_b32_e32 v13, v10, v13
	v_mbcnt_lo_u32_b32 v10, v12, 0
	v_mbcnt_hi_u32_b32 v43, v13, v10
	v_cmp_eq_u32_e64 s[24:25], 0, v43
	v_cmp_ne_u64_e64 s[26:27], 0, v[12:13]
	s_and_b64 s[26:27], s[26:27], s[24:25]
	; wave barrier
	s_and_saveexec_b64 s[24:25], s[26:27]
	s_cbranch_execz .LBB14_39
; %bb.38:
	v_bcnt_u32_b32 v10, v12, 0
	v_bcnt_u32_b32 v10, v13, v10
	s_waitcnt lgkmcnt(0)
	v_add_u32_e32 v10, v41, v10
	ds_write_b32 v45, v10 offset:32
.LBB14_39:
	s_or_b64 exec, exec, s[24:25]
	v_lshrrev_b32_e32 v10, s68, v18
	v_and_b32_e32 v46, s33, v10
	v_mul_lo_u32 v10, v46, 36
	v_lshl_add_u32 v48, v34, 2, v10
	v_and_b32_e32 v10, 1, v46
	v_lshl_add_u64 v[12:13], v[10:11], 0, -1
	v_cmp_ne_u32_e64 s[24:25], 0, v10
	; wave barrier
	s_nop 1
	v_xor_b32_e32 v12, s24, v12
	v_xor_b32_e32 v10, s25, v13
	v_and_b32_e32 v47, exec_lo, v12
	v_lshlrev_b32_e32 v13, 30, v46
	v_mov_b32_e32 v12, v11
	v_cmp_gt_i64_e64 s[24:25], 0, v[12:13]
	v_not_b32_e32 v12, v13
	v_ashrrev_i32_e32 v12, 31, v12
	v_and_b32_e32 v10, exec_hi, v10
	v_xor_b32_e32 v13, s25, v12
	v_xor_b32_e32 v12, s24, v12
	v_and_b32_e32 v10, v10, v13
	v_and_b32_e32 v47, v47, v12
	v_lshlrev_b32_e32 v13, 29, v46
	v_mov_b32_e32 v12, v11
	v_cmp_gt_i64_e64 s[24:25], 0, v[12:13]
	v_not_b32_e32 v12, v13
	v_ashrrev_i32_e32 v12, 31, v12
	v_xor_b32_e32 v13, s25, v12
	v_xor_b32_e32 v12, s24, v12
	v_and_b32_e32 v10, v10, v13
	v_and_b32_e32 v47, v47, v12
	v_lshlrev_b32_e32 v13, 28, v46
	v_mov_b32_e32 v12, v11
	v_cmp_gt_i64_e64 s[24:25], 0, v[12:13]
	v_not_b32_e32 v12, v13
	v_ashrrev_i32_e32 v12, 31, v12
	v_xor_b32_e32 v13, s25, v12
	v_xor_b32_e32 v12, s24, v12
	v_and_b32_e32 v10, v10, v13
	v_lshlrev_b32_e32 v13, 27, v46
	v_and_b32_e32 v47, v47, v12
	v_mov_b32_e32 v12, v11
	v_not_b32_e32 v11, v13
	v_cmp_gt_i64_e64 s[24:25], 0, v[12:13]
	v_ashrrev_i32_e32 v11, 31, v11
	ds_read_b32 v44, v48 offset:32
	v_xor_b32_e32 v12, s25, v11
	v_xor_b32_e32 v13, s24, v11
	v_and_b32_e32 v11, v10, v12
	v_and_b32_e32 v10, v47, v13
	v_mbcnt_lo_u32_b32 v12, v10, 0
	v_mbcnt_hi_u32_b32 v46, v11, v12
	v_cmp_eq_u32_e64 s[24:25], 0, v46
	v_cmp_ne_u64_e64 s[26:27], 0, v[10:11]
	s_and_b64 s[26:27], s[26:27], s[24:25]
	; wave barrier
	s_and_saveexec_b64 s[24:25], s[26:27]
	s_cbranch_execz .LBB14_41
; %bb.40:
	v_bcnt_u32_b32 v10, v10, 0
	v_bcnt_u32_b32 v10, v11, v10
	s_waitcnt lgkmcnt(0)
	v_add_u32_e32 v10, v44, v10
	ds_write_b32 v48, v10 offset:32
.LBB14_41:
	s_or_b64 exec, exec, s[24:25]
	v_lshrrev_b32_e32 v10, s68, v21
	v_and_b32_e32 v49, s33, v10
	v_mul_lo_u32 v10, v49, 36
	v_lshl_add_u32 v51, v34, 2, v10
	v_and_b32_e32 v10, 1, v49
	v_mov_b32_e32 v11, 0
	v_lshl_add_u64 v[12:13], v[10:11], 0, -1
	v_cmp_ne_u32_e64 s[24:25], 0, v10
	; wave barrier
	s_nop 1
	v_xor_b32_e32 v12, s24, v12
	v_xor_b32_e32 v10, s25, v13
	v_and_b32_e32 v50, exec_lo, v12
	v_lshlrev_b32_e32 v13, 30, v49
	v_mov_b32_e32 v12, v11
	v_cmp_gt_i64_e64 s[24:25], 0, v[12:13]
	v_not_b32_e32 v12, v13
	v_ashrrev_i32_e32 v12, 31, v12
	v_and_b32_e32 v10, exec_hi, v10
	v_xor_b32_e32 v13, s25, v12
	v_xor_b32_e32 v12, s24, v12
	v_and_b32_e32 v10, v10, v13
	v_and_b32_e32 v50, v50, v12
	v_lshlrev_b32_e32 v13, 29, v49
	v_mov_b32_e32 v12, v11
	v_cmp_gt_i64_e64 s[24:25], 0, v[12:13]
	v_not_b32_e32 v12, v13
	v_ashrrev_i32_e32 v12, 31, v12
	v_xor_b32_e32 v13, s25, v12
	v_xor_b32_e32 v12, s24, v12
	v_and_b32_e32 v10, v10, v13
	v_and_b32_e32 v50, v50, v12
	v_lshlrev_b32_e32 v13, 28, v49
	v_mov_b32_e32 v12, v11
	v_cmp_gt_i64_e64 s[24:25], 0, v[12:13]
	v_not_b32_e32 v12, v13
	v_ashrrev_i32_e32 v12, 31, v12
	;; [unrolled: 9-line block ×3, first 2 shown]
	v_xor_b32_e32 v13, s25, v12
	v_xor_b32_e32 v12, s24, v12
	ds_read_b32 v47, v51 offset:32
	v_and_b32_e32 v12, v50, v12
	v_and_b32_e32 v13, v10, v13
	v_mbcnt_lo_u32_b32 v10, v12, 0
	v_mbcnt_hi_u32_b32 v49, v13, v10
	v_cmp_eq_u32_e64 s[24:25], 0, v49
	v_cmp_ne_u64_e64 s[26:27], 0, v[12:13]
	s_and_b64 s[26:27], s[26:27], s[24:25]
	; wave barrier
	s_and_saveexec_b64 s[24:25], s[26:27]
	s_cbranch_execz .LBB14_43
; %bb.42:
	v_bcnt_u32_b32 v10, v12, 0
	v_bcnt_u32_b32 v10, v13, v10
	s_waitcnt lgkmcnt(0)
	v_add_u32_e32 v10, v47, v10
	ds_write_b32 v51, v10 offset:32
.LBB14_43:
	s_or_b64 exec, exec, s[24:25]
	v_lshrrev_b32_e32 v10, s68, v20
	v_and_b32_e32 v52, s33, v10
	v_mul_lo_u32 v10, v52, 36
	v_lshl_add_u32 v54, v34, 2, v10
	v_and_b32_e32 v10, 1, v52
	v_lshl_add_u64 v[12:13], v[10:11], 0, -1
	v_cmp_ne_u32_e64 s[24:25], 0, v10
	; wave barrier
	s_nop 1
	v_xor_b32_e32 v12, s24, v12
	v_xor_b32_e32 v10, s25, v13
	v_and_b32_e32 v53, exec_lo, v12
	v_lshlrev_b32_e32 v13, 30, v52
	v_mov_b32_e32 v12, v11
	v_cmp_gt_i64_e64 s[24:25], 0, v[12:13]
	v_not_b32_e32 v12, v13
	v_ashrrev_i32_e32 v12, 31, v12
	v_and_b32_e32 v10, exec_hi, v10
	v_xor_b32_e32 v13, s25, v12
	v_xor_b32_e32 v12, s24, v12
	v_and_b32_e32 v10, v10, v13
	v_and_b32_e32 v53, v53, v12
	v_lshlrev_b32_e32 v13, 29, v52
	v_mov_b32_e32 v12, v11
	v_cmp_gt_i64_e64 s[24:25], 0, v[12:13]
	v_not_b32_e32 v12, v13
	v_ashrrev_i32_e32 v12, 31, v12
	v_xor_b32_e32 v13, s25, v12
	v_xor_b32_e32 v12, s24, v12
	v_and_b32_e32 v10, v10, v13
	v_and_b32_e32 v53, v53, v12
	v_lshlrev_b32_e32 v13, 28, v52
	v_mov_b32_e32 v12, v11
	v_cmp_gt_i64_e64 s[24:25], 0, v[12:13]
	v_not_b32_e32 v12, v13
	v_ashrrev_i32_e32 v12, 31, v12
	v_xor_b32_e32 v13, s25, v12
	v_xor_b32_e32 v12, s24, v12
	v_and_b32_e32 v10, v10, v13
	v_lshlrev_b32_e32 v13, 27, v52
	v_and_b32_e32 v53, v53, v12
	v_mov_b32_e32 v12, v11
	v_not_b32_e32 v11, v13
	v_cmp_gt_i64_e64 s[24:25], 0, v[12:13]
	v_ashrrev_i32_e32 v11, 31, v11
	ds_read_b32 v50, v54 offset:32
	v_xor_b32_e32 v12, s25, v11
	v_xor_b32_e32 v13, s24, v11
	v_and_b32_e32 v11, v10, v12
	v_and_b32_e32 v10, v53, v13
	v_mbcnt_lo_u32_b32 v12, v10, 0
	v_mbcnt_hi_u32_b32 v52, v11, v12
	v_cmp_eq_u32_e64 s[24:25], 0, v52
	v_cmp_ne_u64_e64 s[26:27], 0, v[10:11]
	s_and_b64 s[26:27], s[26:27], s[24:25]
	; wave barrier
	s_and_saveexec_b64 s[24:25], s[26:27]
	s_cbranch_execz .LBB14_45
; %bb.44:
	v_bcnt_u32_b32 v10, v10, 0
	v_bcnt_u32_b32 v10, v11, v10
	s_waitcnt lgkmcnt(0)
	v_add_u32_e32 v10, v50, v10
	ds_write_b32 v54, v10 offset:32
.LBB14_45:
	s_or_b64 exec, exec, s[24:25]
	v_lshrrev_b32_e32 v10, s68, v23
	v_and_b32_e32 v55, s33, v10
	v_mul_lo_u32 v10, v55, 36
	v_lshl_add_u32 v57, v34, 2, v10
	v_and_b32_e32 v10, 1, v55
	v_mov_b32_e32 v11, 0
	v_lshl_add_u64 v[12:13], v[10:11], 0, -1
	v_cmp_ne_u32_e64 s[24:25], 0, v10
	; wave barrier
	s_nop 1
	v_xor_b32_e32 v12, s24, v12
	v_xor_b32_e32 v10, s25, v13
	v_and_b32_e32 v56, exec_lo, v12
	v_lshlrev_b32_e32 v13, 30, v55
	v_mov_b32_e32 v12, v11
	v_cmp_gt_i64_e64 s[24:25], 0, v[12:13]
	v_not_b32_e32 v12, v13
	v_ashrrev_i32_e32 v12, 31, v12
	v_and_b32_e32 v10, exec_hi, v10
	v_xor_b32_e32 v13, s25, v12
	v_xor_b32_e32 v12, s24, v12
	v_and_b32_e32 v10, v10, v13
	v_and_b32_e32 v56, v56, v12
	v_lshlrev_b32_e32 v13, 29, v55
	v_mov_b32_e32 v12, v11
	v_cmp_gt_i64_e64 s[24:25], 0, v[12:13]
	v_not_b32_e32 v12, v13
	v_ashrrev_i32_e32 v12, 31, v12
	v_xor_b32_e32 v13, s25, v12
	v_xor_b32_e32 v12, s24, v12
	v_and_b32_e32 v10, v10, v13
	v_and_b32_e32 v56, v56, v12
	v_lshlrev_b32_e32 v13, 28, v55
	v_mov_b32_e32 v12, v11
	v_cmp_gt_i64_e64 s[24:25], 0, v[12:13]
	v_not_b32_e32 v12, v13
	v_ashrrev_i32_e32 v12, 31, v12
	v_xor_b32_e32 v13, s25, v12
	v_xor_b32_e32 v12, s24, v12
	v_and_b32_e32 v10, v10, v13
	v_and_b32_e32 v56, v56, v12
	v_lshlrev_b32_e32 v13, 27, v55
	v_mov_b32_e32 v12, v11
	v_cmp_gt_i64_e64 s[24:25], 0, v[12:13]
	v_not_b32_e32 v12, v13
	v_ashrrev_i32_e32 v12, 31, v12
	v_xor_b32_e32 v13, s25, v12
	v_xor_b32_e32 v12, s24, v12
	ds_read_b32 v53, v57 offset:32
	v_and_b32_e32 v12, v56, v12
	v_and_b32_e32 v13, v10, v13
	v_mbcnt_lo_u32_b32 v10, v12, 0
	v_mbcnt_hi_u32_b32 v55, v13, v10
	v_cmp_eq_u32_e64 s[24:25], 0, v55
	v_cmp_ne_u64_e64 s[26:27], 0, v[12:13]
	s_and_b64 s[26:27], s[26:27], s[24:25]
	; wave barrier
	s_and_saveexec_b64 s[24:25], s[26:27]
	s_cbranch_execz .LBB14_47
; %bb.46:
	v_bcnt_u32_b32 v10, v12, 0
	v_bcnt_u32_b32 v10, v13, v10
	s_waitcnt lgkmcnt(0)
	v_add_u32_e32 v10, v53, v10
	ds_write_b32 v57, v10 offset:32
.LBB14_47:
	s_or_b64 exec, exec, s[24:25]
	v_lshrrev_b32_e32 v10, s68, v22
	v_and_b32_e32 v13, s33, v10
	v_mul_lo_u32 v10, v13, 36
	v_lshl_add_u32 v12, v34, 2, v10
	v_and_b32_e32 v10, 1, v13
	v_lshl_add_u64 v[58:59], v[10:11], 0, -1
	v_cmp_ne_u32_e64 s[24:25], 0, v10
	; wave barrier
	s_nop 1
	v_xor_b32_e32 v10, s25, v59
	v_xor_b32_e32 v34, s24, v58
	v_lshlrev_b32_e32 v59, 30, v13
	v_mov_b32_e32 v58, v11
	v_cmp_gt_i64_e64 s[24:25], 0, v[58:59]
	v_not_b32_e32 v58, v59
	v_ashrrev_i32_e32 v58, 31, v58
	v_and_b32_e32 v10, exec_hi, v10
	v_and_b32_e32 v34, exec_lo, v34
	v_xor_b32_e32 v59, s25, v58
	v_xor_b32_e32 v58, s24, v58
	v_and_b32_e32 v10, v10, v59
	v_and_b32_e32 v34, v34, v58
	v_lshlrev_b32_e32 v59, 29, v13
	v_mov_b32_e32 v58, v11
	v_cmp_gt_i64_e64 s[24:25], 0, v[58:59]
	v_not_b32_e32 v58, v59
	v_ashrrev_i32_e32 v58, 31, v58
	v_xor_b32_e32 v59, s25, v58
	v_xor_b32_e32 v58, s24, v58
	v_and_b32_e32 v10, v10, v59
	v_and_b32_e32 v34, v34, v58
	v_lshlrev_b32_e32 v59, 28, v13
	v_mov_b32_e32 v58, v11
	v_cmp_gt_i64_e64 s[24:25], 0, v[58:59]
	v_not_b32_e32 v58, v59
	v_ashrrev_i32_e32 v58, 31, v58
	v_xor_b32_e32 v59, s25, v58
	v_xor_b32_e32 v58, s24, v58
	v_and_b32_e32 v10, v10, v59
	v_lshlrev_b32_e32 v59, 27, v13
	v_and_b32_e32 v34, v34, v58
	v_mov_b32_e32 v58, v11
	v_not_b32_e32 v11, v59
	v_cmp_gt_i64_e64 s[24:25], 0, v[58:59]
	v_ashrrev_i32_e32 v11, 31, v11
	ds_read_b32 v56, v12 offset:32
	v_xor_b32_e32 v13, s25, v11
	v_xor_b32_e32 v58, s24, v11
	v_and_b32_e32 v11, v10, v13
	v_and_b32_e32 v10, v34, v58
	v_mbcnt_lo_u32_b32 v13, v10, 0
	v_mbcnt_hi_u32_b32 v58, v11, v13
	v_cmp_eq_u32_e64 s[24:25], 0, v58
	v_cmp_ne_u64_e64 s[26:27], 0, v[10:11]
	s_and_b64 s[26:27], s[26:27], s[24:25]
	; wave barrier
	s_and_saveexec_b64 s[24:25], s[26:27]
	s_cbranch_execz .LBB14_49
; %bb.48:
	v_bcnt_u32_b32 v10, v10, 0
	v_bcnt_u32_b32 v10, v11, v10
	s_waitcnt lgkmcnt(0)
	v_add_u32_e32 v10, v56, v10
	ds_write_b32 v12, v10 offset:32
.LBB14_49:
	s_or_b64 exec, exec, s[24:25]
	; wave barrier
	s_waitcnt lgkmcnt(0)
	s_barrier
	ds_read_b32 v10, v2 offset:32
	v_and_b32_e32 v11, 15, v15
	v_cmp_ne_u32_e64 s[24:25], 0, v11
	s_waitcnt lgkmcnt(0)
	v_mov_b32_dpp v13, v10 row_shr:1 row_mask:0xf bank_mask:0xf
	v_cndmask_b32_e64 v13, 0, v13, s[24:25]
	v_add_u32_e32 v10, v13, v10
	v_cmp_lt_u32_e64 s[24:25], 1, v11
	s_nop 0
	v_mov_b32_dpp v13, v10 row_shr:2 row_mask:0xf bank_mask:0xf
	v_cndmask_b32_e64 v13, 0, v13, s[24:25]
	v_add_u32_e32 v10, v10, v13
	v_cmp_lt_u32_e64 s[24:25], 3, v11
	s_nop 0
	;; [unrolled: 5-line block ×3, first 2 shown]
	v_mov_b32_dpp v13, v10 row_shr:8 row_mask:0xf bank_mask:0xf
	v_cndmask_b32_e64 v11, 0, v13, s[24:25]
	v_add_u32_e32 v10, v10, v11
	v_bfe_i32 v13, v15, 4, 1
	v_cmp_lt_u32_e64 s[24:25], 31, v15
	v_mov_b32_dpp v11, v10 row_bcast:15 row_mask:0xf bank_mask:0xf
	v_and_b32_e32 v11, v13, v11
	v_add_u32_e32 v10, v10, v11
	v_min_u32_e32 v13, 0x1c0, v24
	v_or_b32_e32 v13, 63, v13
	v_mov_b32_dpp v11, v10 row_bcast:31 row_mask:0xf bank_mask:0xf
	v_cndmask_b32_e64 v11, 0, v11, s[24:25]
	v_add_u32_e32 v10, v10, v11
	v_lshrrev_b32_e32 v11, 6, v8
	v_cmp_eq_u32_e64 s[24:25], v8, v13
	s_and_saveexec_b64 s[26:27], s[24:25]
; %bb.50:
	v_lshlrev_b32_e32 v13, 2, v11
	ds_write_b32 v13, v10
; %bb.51:
	s_or_b64 exec, exec, s[26:27]
	v_cmp_gt_u32_e64 s[24:25], 8, v8
	s_waitcnt lgkmcnt(0)
	s_barrier
	s_and_saveexec_b64 s[26:27], s[24:25]
	s_cbranch_execz .LBB14_53
; %bb.52:
	ds_read_b32 v13, v2
	v_and_b32_e32 v24, 7, v15
	v_cmp_ne_u32_e64 s[24:25], 0, v24
	s_waitcnt lgkmcnt(0)
	v_mov_b32_dpp v34, v13 row_shr:1 row_mask:0xf bank_mask:0xf
	v_cndmask_b32_e64 v34, 0, v34, s[24:25]
	v_add_u32_e32 v13, v34, v13
	v_cmp_lt_u32_e64 s[24:25], 1, v24
	s_nop 0
	v_mov_b32_dpp v34, v13 row_shr:2 row_mask:0xf bank_mask:0xf
	v_cndmask_b32_e64 v34, 0, v34, s[24:25]
	v_add_u32_e32 v13, v13, v34
	v_cmp_lt_u32_e64 s[24:25], 3, v24
	s_nop 0
	v_mov_b32_dpp v34, v13 row_shr:4 row_mask:0xf bank_mask:0xf
	v_cndmask_b32_e64 v24, 0, v34, s[24:25]
	v_add_u32_e32 v13, v13, v24
	ds_write_b32 v2, v13
.LBB14_53:
	s_or_b64 exec, exec, s[26:27]
	v_cmp_lt_u32_e64 s[24:25], 63, v8
	v_mov_b32_e32 v13, 0
	s_waitcnt lgkmcnt(0)
	s_barrier
	s_and_saveexec_b64 s[26:27], s[24:25]
; %bb.54:
	v_lshl_add_u32 v11, v11, 2, -4
	ds_read_b32 v13, v11
; %bb.55:
	s_or_b64 exec, exec, s[26:27]
	v_add_u32_e32 v11, -1, v15
	v_and_b32_e32 v24, 64, v15
	v_cmp_lt_i32_e64 s[24:25], v11, v24
	s_waitcnt lgkmcnt(0)
	v_add_u32_e32 v10, v13, v10
	v_cmp_gt_u32_e64 s[26:27], 32, v8
	v_cndmask_b32_e64 v11, v11, v15, s[24:25]
	v_lshlrev_b32_e32 v11, 2, v11
	ds_bpermute_b32 v10, v11, v10
	v_cmp_eq_u32_e64 s[24:25], 0, v15
	s_waitcnt lgkmcnt(0)
	s_nop 0
	v_cndmask_b32_e64 v10, v10, v13, s[24:25]
	ds_write_b32 v2, v10 offset:32
	s_waitcnt lgkmcnt(0)
	s_barrier
	ds_read_b32 v13, v26 offset:32
	ds_read_b32 v34, v28 offset:32
	;; [unrolled: 1-line block ×12, first 2 shown]
	v_cmp_lt_u32_e64 s[24:25], 31, v8
	v_mov_b64_e32 v[10:11], 0
                                        ; implicit-def: $vgpr12
	s_and_saveexec_b64 s[30:31], s[26:27]
	s_cbranch_execz .LBB14_59
; %bb.56:
	v_mul_u32_u24_e32 v10, 36, v8
	ds_read_b32 v10, v10 offset:32
	v_add_u32_e32 v12, 1, v8
	v_cmp_ne_u32_e64 s[28:29], 32, v12
	v_mov_b32_e32 v11, 0x1800
	s_and_saveexec_b64 s[34:35], s[28:29]
; %bb.57:
	v_mul_u32_u24_e32 v11, 36, v12
	ds_read_b32 v11, v11 offset:32
; %bb.58:
	s_or_b64 exec, exec, s[34:35]
	s_waitcnt lgkmcnt(0)
	v_sub_u32_e32 v12, v11, v10
	v_mov_b32_e32 v11, 0
.LBB14_59:
	s_or_b64 exec, exec, s[30:31]
	v_lshlrev_b32_e32 v3, 2, v3
	s_waitcnt lgkmcnt(11)
	v_lshl_add_u32 v13, v13, 2, v3
	s_waitcnt lgkmcnt(0)
	s_barrier
	ds_write_b32 v13, v5 offset:256
	v_lshlrev_b32_e32 v3, 2, v34
	v_lshlrev_b32_e32 v5, 2, v27
	;; [unrolled: 1-line block ×3, first 2 shown]
	v_add3_u32 v34, v3, v5, v25
	ds_write_b32 v34, v9 offset:256
	v_lshlrev_b32_e32 v3, 2, v62
	v_lshlrev_b32_e32 v5, 2, v30
	v_lshlrev_b32_e32 v9, 2, v29
	v_add3_u32 v35, v3, v5, v9
	v_lshlrev_b32_e32 v3, 2, v61
	v_lshlrev_b32_e32 v5, 2, v33
	;; [unrolled: 1-line block ×3, first 2 shown]
	v_add3_u32 v33, v3, v5, v9
	ds_write_b32 v35, v14 offset:256
	ds_write_b32 v33, v7 offset:256
	v_lshlrev_b32_e32 v3, 2, v60
	v_lshlrev_b32_e32 v5, 2, v37
	v_lshlrev_b32_e32 v7, 2, v36
	v_add3_u32 v36, v3, v5, v7
	v_lshlrev_b32_e32 v3, 2, v59
	v_lshlrev_b32_e32 v5, 2, v40
	v_lshlrev_b32_e32 v7, 2, v38
	v_add3_u32 v37, v3, v5, v7
	;; [unrolled: 4-line block ×7, first 2 shown]
	v_lshlrev_b32_e32 v3, 2, v24
	v_lshlrev_b32_e32 v5, 2, v58
	;; [unrolled: 1-line block ×3, first 2 shown]
	v_mov_b32_e32 v15, 0
	v_add3_u32 v43, v3, v5, v7
	v_lshlrev_b32_e32 v32, 3, v8
	ds_write_b32 v36, v17 offset:256
	ds_write_b32 v37, v16 offset:256
	;; [unrolled: 1-line block ×8, first 2 shown]
	s_waitcnt lgkmcnt(0)
	s_barrier
	s_and_saveexec_b64 s[28:29], s[26:27]
	s_cbranch_execz .LBB14_69
; %bb.60:
	v_lshl_add_u32 v14, s2, 5, v8
	v_lshl_add_u64 v[16:17], v[14:15], 2, s[54:55]
	v_or_b32_e32 v3, 2.0, v12
	global_store_dword v[16:17], v3, off sc1
	s_mov_b64 s[30:31], 0
	s_brev_b32 s38, -4
	s_mov_b32 s39, s2
	v_mov_b32_e32 v3, 0
                                        ; implicit-def: $sgpr26_sgpr27
	s_branch .LBB14_63
.LBB14_61:                              ;   in Loop: Header=BB14_63 Depth=1
	s_or_b64 exec, exec, s[36:37]
.LBB14_62:                              ;   in Loop: Header=BB14_63 Depth=1
	s_or_b64 exec, exec, s[34:35]
	v_and_b32_e32 v7, 0x3fffffff, v5
	v_add_u32_e32 v3, v7, v3
	v_cmp_gt_i32_e64 s[26:27], -2.0, v5
	s_and_b64 s[34:35], exec, s[26:27]
	s_or_b64 s[30:31], s[34:35], s[30:31]
	s_andn2_b64 exec, exec, s[30:31]
	s_cbranch_execz .LBB14_68
.LBB14_63:                              ; =>This Loop Header: Depth=1
                                        ;     Child Loop BB14_66 Depth 2
	s_or_b64 s[26:27], s[26:27], exec
	s_cmp_eq_u32 s39, 0
	s_cbranch_scc1 .LBB14_67
; %bb.64:                               ;   in Loop: Header=BB14_63 Depth=1
	s_add_i32 s39, s39, -1
	v_lshl_or_b32 v14, s39, 5, v8
	v_lshl_add_u64 v[18:19], v[14:15], 2, s[54:55]
	global_load_dword v5, v[18:19], off sc1
	s_waitcnt vmcnt(0)
	v_cmp_gt_u32_e64 s[26:27], 2.0, v5
	s_and_saveexec_b64 s[34:35], s[26:27]
	s_cbranch_execz .LBB14_62
; %bb.65:                               ;   in Loop: Header=BB14_63 Depth=1
	s_mov_b64 s[36:37], 0
.LBB14_66:                              ;   Parent Loop BB14_63 Depth=1
                                        ; =>  This Inner Loop Header: Depth=2
	global_load_dword v5, v[18:19], off sc1
	s_waitcnt vmcnt(0)
	v_cmp_lt_u32_e64 s[26:27], s38, v5
	s_or_b64 s[36:37], s[26:27], s[36:37]
	s_andn2_b64 exec, exec, s[36:37]
	s_cbranch_execnz .LBB14_66
	s_branch .LBB14_61
.LBB14_67:                              ;   in Loop: Header=BB14_63 Depth=1
                                        ; implicit-def: $sgpr39
	s_and_b64 s[34:35], exec, s[26:27]
	s_or_b64 s[30:31], s[34:35], s[30:31]
	s_andn2_b64 exec, exec, s[30:31]
	s_cbranch_execnz .LBB14_63
.LBB14_68:
	s_or_b64 exec, exec, s[30:31]
	v_add_u32_e32 v5, v3, v12
	v_or_b32_e32 v5, 0x80000000, v5
	global_store_dword v[16:17], v5, off sc1
	global_load_dwordx2 v[14:15], v32, s[64:65]
	v_sub_co_u32_e64 v16, s[26:27], v3, v10
	s_nop 1
	v_subb_co_u32_e64 v17, s[26:27], 0, v11, s[26:27]
	s_waitcnt vmcnt(0)
	v_lshl_add_u64 v[14:15], v[16:17], 0, v[14:15]
	ds_write_b64 v32, v[14:15]
.LBB14_69:
	s_or_b64 exec, exec, s[28:29]
	v_cmp_gt_u32_e64 s[26:27], s73, v8
	s_waitcnt lgkmcnt(0)
	s_barrier
	s_and_saveexec_b64 s[28:29], s[26:27]
	s_cbranch_execz .LBB14_71
; %bb.70:
	v_sub_u32_e32 v3, v32, v2
	ds_read_b32 v3, v3 offset:256
	s_waitcnt lgkmcnt(0)
	v_lshrrev_b32_e32 v5, s68, v3
	v_and_b32_e32 v5, s33, v5
	v_lshlrev_b32_e32 v5, 3, v5
	ds_read_b64 v[14:15], v5
	v_xor_b32_e32 v5, 0x7fffffff, v3
	v_mov_b32_e32 v3, 0
	s_waitcnt lgkmcnt(0)
	v_lshl_add_u64 v[14:15], v[14:15], 2, s[58:59]
	v_lshl_add_u64 v[14:15], v[14:15], 0, v[2:3]
	global_store_dword v[14:15], v5, off
.LBB14_71:
	s_or_b64 exec, exec, s[28:29]
	v_add_u32_e32 v3, 0x200, v8
	v_cmp_gt_u32_e64 s[28:29], s73, v3
	s_and_saveexec_b64 s[30:31], s[28:29]
	s_cbranch_execz .LBB14_73
; %bb.72:
	v_sub_u32_e32 v3, v32, v2
	ds_read_b32 v3, v3 offset:2304
	s_waitcnt lgkmcnt(0)
	v_lshrrev_b32_e32 v5, s68, v3
	v_and_b32_e32 v5, s33, v5
	v_lshlrev_b32_e32 v5, 3, v5
	ds_read_b64 v[14:15], v5
	v_xor_b32_e32 v5, 0x7fffffff, v3
	v_mov_b32_e32 v3, 0
	s_waitcnt lgkmcnt(0)
	v_lshl_add_u64 v[14:15], v[14:15], 2, s[58:59]
	v_lshl_add_u64 v[14:15], v[14:15], 0, v[2:3]
	global_store_dword v[14:15], v5, off offset:2048
.LBB14_73:
	s_or_b64 exec, exec, s[30:31]
	v_or_b32_e32 v3, 0x400, v8
	v_cmp_gt_u32_e64 s[30:31], s73, v3
	v_lshlrev_b32_e32 v14, 2, v3
	s_and_saveexec_b64 s[34:35], s[30:31]
	s_cbranch_execz .LBB14_75
; %bb.74:
	v_sub_u32_e32 v3, v32, v2
	ds_read_b32 v3, v3 offset:4352
	v_mov_b32_e32 v15, 0
	s_waitcnt lgkmcnt(0)
	v_lshrrev_b32_e32 v5, s68, v3
	v_and_b32_e32 v5, s33, v5
	v_lshlrev_b32_e32 v5, 3, v5
	ds_read_b64 v[16:17], v5
	v_xor_b32_e32 v3, 0x7fffffff, v3
	s_waitcnt lgkmcnt(0)
	v_lshl_add_u64 v[16:17], v[16:17], 2, s[58:59]
	v_lshl_add_u64 v[16:17], v[16:17], 0, v[14:15]
	global_store_dword v[16:17], v3, off
.LBB14_75:
	s_or_b64 exec, exec, s[34:35]
	v_add_u32_e32 v3, 0x600, v8
	v_cmp_gt_u32_e64 s[34:35], s73, v3
	v_lshlrev_b32_e32 v16, 2, v3
	s_and_saveexec_b64 s[36:37], s[34:35]
	s_cbranch_execz .LBB14_77
; %bb.76:
	v_sub_u32_e32 v3, v32, v2
	ds_read_b32 v3, v3 offset:6400
	v_mov_b32_e32 v17, 0
	s_waitcnt lgkmcnt(0)
	v_lshrrev_b32_e32 v5, s68, v3
	v_and_b32_e32 v5, s33, v5
	v_lshlrev_b32_e32 v5, 3, v5
	ds_read_b64 v[18:19], v5
	v_xor_b32_e32 v3, 0x7fffffff, v3
	s_waitcnt lgkmcnt(0)
	v_lshl_add_u64 v[18:19], v[18:19], 2, s[58:59]
	v_lshl_add_u64 v[18:19], v[18:19], 0, v[16:17]
	global_store_dword v[18:19], v3, off
.LBB14_77:
	s_or_b64 exec, exec, s[36:37]
	v_or_b32_e32 v3, 0x800, v8
	v_cmp_gt_u32_e64 s[36:37], s73, v3
	v_lshlrev_b32_e32 v18, 2, v3
	s_and_saveexec_b64 s[38:39], s[36:37]
	s_cbranch_execz .LBB14_79
; %bb.78:
	v_sub_u32_e32 v3, v32, v2
	ds_read_b32 v3, v3 offset:8448
	v_mov_b32_e32 v19, 0
	s_waitcnt lgkmcnt(0)
	v_lshrrev_b32_e32 v5, s68, v3
	v_and_b32_e32 v5, s33, v5
	v_lshlrev_b32_e32 v5, 3, v5
	ds_read_b64 v[20:21], v5
	v_xor_b32_e32 v3, 0x7fffffff, v3
	s_waitcnt lgkmcnt(0)
	v_lshl_add_u64 v[20:21], v[20:21], 2, s[58:59]
	v_lshl_add_u64 v[20:21], v[20:21], 0, v[18:19]
	global_store_dword v[20:21], v3, off
.LBB14_79:
	s_or_b64 exec, exec, s[38:39]
	v_add_u32_e32 v3, 0xa00, v8
	v_cmp_gt_u32_e64 s[38:39], s73, v3
	v_lshlrev_b32_e32 v20, 2, v3
	s_and_saveexec_b64 s[40:41], s[38:39]
	s_cbranch_execz .LBB14_81
; %bb.80:
	v_sub_u32_e32 v3, v32, v2
	ds_read_b32 v3, v3 offset:10496
	v_mov_b32_e32 v21, 0
	s_waitcnt lgkmcnt(0)
	v_lshrrev_b32_e32 v5, s68, v3
	v_and_b32_e32 v5, s33, v5
	v_lshlrev_b32_e32 v5, 3, v5
	ds_read_b64 v[22:23], v5
	v_xor_b32_e32 v3, 0x7fffffff, v3
	s_waitcnt lgkmcnt(0)
	v_lshl_add_u64 v[22:23], v[22:23], 2, s[58:59]
	v_lshl_add_u64 v[22:23], v[22:23], 0, v[20:21]
	global_store_dword v[22:23], v3, off
.LBB14_81:
	;; [unrolled: 42-line block ×3, first 2 shown]
	s_or_b64 exec, exec, s[44:45]
	v_or_b32_e32 v3, 0x1000, v8
	v_cmp_gt_u32_e64 s[44:45], s73, v3
	v_lshlrev_b32_e32 v26, 2, v3
	s_and_saveexec_b64 s[46:47], s[44:45]
	s_cbranch_execz .LBB14_87
; %bb.86:
	v_sub_u32_e32 v3, v32, v2
	ds_read_b32 v3, v3 offset:16640
	v_mov_b32_e32 v27, 0
	s_waitcnt lgkmcnt(0)
	v_lshrrev_b32_e32 v5, s68, v3
	v_and_b32_e32 v5, s33, v5
	v_lshlrev_b32_e32 v5, 3, v5
	ds_read_b64 v[28:29], v5
	v_xor_b32_e32 v3, 0x7fffffff, v3
	s_waitcnt lgkmcnt(0)
	v_lshl_add_u64 v[28:29], v[28:29], 2, s[58:59]
	v_lshl_add_u64 v[28:29], v[28:29], 0, v[26:27]
	global_store_dword v[28:29], v3, off
.LBB14_87:
	s_or_b64 exec, exec, s[46:47]
	v_add_u32_e32 v3, 0x1200, v8
	v_cmp_gt_u32_e64 s[46:47], s73, v3
	v_lshlrev_b32_e32 v28, 2, v3
	s_and_saveexec_b64 s[48:49], s[46:47]
	s_cbranch_execz .LBB14_89
; %bb.88:
	ds_read_b32 v3, v2 offset:18688
	v_mov_b32_e32 v29, 0
	s_waitcnt lgkmcnt(0)
	v_lshrrev_b32_e32 v5, s68, v3
	v_and_b32_e32 v5, s33, v5
	v_lshlrev_b32_e32 v5, 3, v5
	ds_read_b64 v[30:31], v5
	v_xor_b32_e32 v3, 0x7fffffff, v3
	s_waitcnt lgkmcnt(0)
	v_lshl_add_u64 v[30:31], v[30:31], 2, s[58:59]
	v_lshl_add_u64 v[30:31], v[30:31], 0, v[28:29]
	global_store_dword v[30:31], v3, off
.LBB14_89:
	s_or_b64 exec, exec, s[48:49]
	v_or_b32_e32 v3, 0x1400, v8
	v_cmp_gt_u32_e64 s[48:49], s73, v3
	v_lshlrev_b32_e32 v30, 2, v3
	s_and_saveexec_b64 s[50:51], s[48:49]
	s_cbranch_execz .LBB14_91
; %bb.90:
	ds_read_b32 v3, v2 offset:20736
	v_mov_b32_e32 v31, 0
	s_waitcnt lgkmcnt(0)
	v_lshrrev_b32_e32 v5, s68, v3
	v_and_b32_e32 v5, s33, v5
	v_lshlrev_b32_e32 v5, 3, v5
	ds_read_b64 v[44:45], v5
	v_xor_b32_e32 v3, 0x7fffffff, v3
	s_waitcnt lgkmcnt(0)
	v_lshl_add_u64 v[44:45], v[44:45], 2, s[58:59]
	v_lshl_add_u64 v[44:45], v[44:45], 0, v[30:31]
	global_store_dword v[44:45], v3, off
.LBB14_91:
	s_or_b64 exec, exec, s[50:51]
	v_add_u32_e32 v3, 0x1600, v8
	v_cmp_gt_u32_e64 s[50:51], s73, v3
	v_lshlrev_b32_e32 v8, 2, v3
	s_and_saveexec_b64 s[74:75], s[50:51]
	s_cbranch_execz .LBB14_93
; %bb.92:
	ds_read_b32 v3, v2 offset:22784
	v_mov_b32_e32 v9, 0
	s_waitcnt lgkmcnt(0)
	v_lshrrev_b32_e32 v5, s68, v3
	v_and_b32_e32 v5, s33, v5
	v_lshlrev_b32_e32 v5, 3, v5
	ds_read_b64 v[44:45], v5
	v_xor_b32_e32 v3, 0x7fffffff, v3
	s_waitcnt lgkmcnt(0)
	v_lshl_add_u64 v[44:45], v[44:45], 2, s[58:59]
	v_lshl_add_u64 v[44:45], v[44:45], 0, v[8:9]
	global_store_dword v[44:45], v3, off
.LBB14_93:
	s_or_b64 exec, exec, s[74:75]
	s_add_u32 s70, s60, s70
	s_addc_u32 s71, s61, s71
	v_mov_b32_e32 v5, 0
	v_lshl_add_u64 v[44:45], s[70:71], 0, v[4:5]
	v_mov_b32_e32 v7, v5
	v_lshl_add_u64 v[4:5], v[44:45], 0, v[6:7]
                                        ; implicit-def: $vgpr3
	s_and_saveexec_b64 s[70:71], vcc
	s_xor_b64 s[70:71], exec, s[70:71]
	s_cbranch_execz .LBB14_105
; %bb.94:
	global_load_dword v3, v[4:5], off
	s_or_b64 exec, exec, s[70:71]
                                        ; implicit-def: $vgpr6
	s_and_saveexec_b64 s[70:71], s[52:53]
	s_cbranch_execnz .LBB14_106
.LBB14_95:
	s_or_b64 exec, exec, s[70:71]
                                        ; implicit-def: $vgpr7
	s_and_saveexec_b64 s[52:53], s[4:5]
	s_cbranch_execz .LBB14_107
.LBB14_96:
	global_load_dword v7, v[4:5], off offset:512
	s_or_b64 exec, exec, s[52:53]
                                        ; implicit-def: $vgpr9
	s_and_saveexec_b64 s[4:5], s[6:7]
	s_cbranch_execnz .LBB14_108
.LBB14_97:
	s_or_b64 exec, exec, s[4:5]
                                        ; implicit-def: $vgpr15
	s_and_saveexec_b64 s[4:5], s[8:9]
	s_cbranch_execz .LBB14_109
.LBB14_98:
	global_load_dword v15, v[4:5], off offset:1024
	s_or_b64 exec, exec, s[4:5]
                                        ; implicit-def: $vgpr17
	s_and_saveexec_b64 s[4:5], s[10:11]
	s_cbranch_execnz .LBB14_110
.LBB14_99:
	s_or_b64 exec, exec, s[4:5]
                                        ; implicit-def: $vgpr19
	s_and_saveexec_b64 s[4:5], s[12:13]
	s_cbranch_execz .LBB14_111
.LBB14_100:
	global_load_dword v19, v[4:5], off offset:1536
	s_or_b64 exec, exec, s[4:5]
                                        ; implicit-def: $vgpr21
	s_and_saveexec_b64 s[4:5], s[14:15]
	s_cbranch_execnz .LBB14_112
.LBB14_101:
	s_or_b64 exec, exec, s[4:5]
                                        ; implicit-def: $vgpr23
	s_and_saveexec_b64 s[4:5], s[16:17]
	s_cbranch_execz .LBB14_113
.LBB14_102:
	global_load_dword v23, v[4:5], off offset:2048
	s_or_b64 exec, exec, s[4:5]
                                        ; implicit-def: $vgpr44
	s_and_saveexec_b64 s[4:5], s[18:19]
	s_cbranch_execnz .LBB14_114
.LBB14_103:
	s_or_b64 exec, exec, s[4:5]
                                        ; implicit-def: $vgpr48
	s_and_saveexec_b64 s[4:5], s[20:21]
	s_cbranch_execz .LBB14_115
.LBB14_104:
	global_load_dword v48, v[4:5], off offset:2560
	s_or_b64 exec, exec, s[4:5]
                                        ; implicit-def: $vgpr51
	s_and_saveexec_b64 s[4:5], s[22:23]
	s_cbranch_execnz .LBB14_116
	s_branch .LBB14_117
.LBB14_105:
	s_or_b64 exec, exec, s[70:71]
                                        ; implicit-def: $vgpr6
	s_and_saveexec_b64 s[70:71], s[52:53]
	s_cbranch_execz .LBB14_95
.LBB14_106:
	global_load_dword v6, v[4:5], off offset:256
	s_or_b64 exec, exec, s[70:71]
                                        ; implicit-def: $vgpr7
	s_and_saveexec_b64 s[52:53], s[4:5]
	s_cbranch_execnz .LBB14_96
.LBB14_107:
	s_or_b64 exec, exec, s[52:53]
                                        ; implicit-def: $vgpr9
	s_and_saveexec_b64 s[4:5], s[6:7]
	s_cbranch_execz .LBB14_97
.LBB14_108:
	global_load_dword v9, v[4:5], off offset:768
	s_or_b64 exec, exec, s[4:5]
                                        ; implicit-def: $vgpr15
	s_and_saveexec_b64 s[4:5], s[8:9]
	s_cbranch_execnz .LBB14_98
.LBB14_109:
	s_or_b64 exec, exec, s[4:5]
                                        ; implicit-def: $vgpr17
	s_and_saveexec_b64 s[4:5], s[10:11]
	s_cbranch_execz .LBB14_99
.LBB14_110:
	global_load_dword v17, v[4:5], off offset:1280
	s_or_b64 exec, exec, s[4:5]
                                        ; implicit-def: $vgpr19
	s_and_saveexec_b64 s[4:5], s[12:13]
	s_cbranch_execnz .LBB14_100
.LBB14_111:
	s_or_b64 exec, exec, s[4:5]
                                        ; implicit-def: $vgpr21
	s_and_saveexec_b64 s[4:5], s[14:15]
	s_cbranch_execz .LBB14_101
.LBB14_112:
	global_load_dword v21, v[4:5], off offset:1792
	s_or_b64 exec, exec, s[4:5]
                                        ; implicit-def: $vgpr23
	s_and_saveexec_b64 s[4:5], s[16:17]
	s_cbranch_execnz .LBB14_102
.LBB14_113:
	s_or_b64 exec, exec, s[4:5]
                                        ; implicit-def: $vgpr44
	s_and_saveexec_b64 s[4:5], s[18:19]
	s_cbranch_execz .LBB14_103
.LBB14_114:
	global_load_dword v44, v[4:5], off offset:2304
	s_or_b64 exec, exec, s[4:5]
                                        ; implicit-def: $vgpr48
	s_and_saveexec_b64 s[4:5], s[20:21]
	s_cbranch_execnz .LBB14_104
.LBB14_115:
	s_or_b64 exec, exec, s[4:5]
                                        ; implicit-def: $vgpr51
	s_and_saveexec_b64 s[4:5], s[22:23]
	s_cbranch_execz .LBB14_117
.LBB14_116:
	global_load_dword v51, v[4:5], off offset:2816
.LBB14_117:
	s_or_b64 exec, exec, s[4:5]
	v_mov_b32_e32 v47, 0
	v_mov_b32_e32 v52, 0
	s_and_saveexec_b64 s[4:5], s[26:27]
	s_cbranch_execz .LBB14_119
; %bb.118:
	ds_read_b32 v4, v2 offset:256
	s_waitcnt lgkmcnt(0)
	v_lshrrev_b32_e32 v4, s68, v4
	v_and_b32_e32 v52, s33, v4
.LBB14_119:
	s_or_b64 exec, exec, s[4:5]
	s_and_saveexec_b64 s[4:5], s[28:29]
	s_cbranch_execz .LBB14_121
; %bb.120:
	ds_read_b32 v4, v2 offset:2304
	s_waitcnt lgkmcnt(0)
	v_lshrrev_b32_e32 v4, s68, v4
	v_and_b32_e32 v47, s33, v4
.LBB14_121:
	s_or_b64 exec, exec, s[4:5]
	v_mov_b32_e32 v45, 0
	v_mov_b32_e32 v50, 0
	s_and_saveexec_b64 s[4:5], s[30:31]
	s_cbranch_execz .LBB14_123
; %bb.122:
	ds_read_b32 v4, v2 offset:4352
	s_waitcnt lgkmcnt(0)
	v_lshrrev_b32_e32 v4, s68, v4
	v_and_b32_e32 v50, s33, v4
.LBB14_123:
	s_or_b64 exec, exec, s[4:5]
	s_and_saveexec_b64 s[4:5], s[34:35]
	s_cbranch_execz .LBB14_125
; %bb.124:
	ds_read_b32 v4, v2 offset:6400
	s_waitcnt lgkmcnt(0)
	v_lshrrev_b32_e32 v4, s68, v4
	v_and_b32_e32 v45, s33, v4
.LBB14_125:
	;; [unrolled: 20-line block ×6, first 2 shown]
	s_or_b64 exec, exec, s[4:5]
	s_barrier
	s_waitcnt vmcnt(0)
	ds_write_b32 v13, v3 offset:256
	ds_write_b32 v34, v6 offset:256
	;; [unrolled: 1-line block ×12, first 2 shown]
	s_waitcnt lgkmcnt(0)
	s_barrier
	s_and_saveexec_b64 s[4:5], s[26:27]
	s_cbranch_execz .LBB14_153
; %bb.142:
	v_lshlrev_b32_e32 v3, 3, v52
	ds_read_b64 v[6:7], v3
	ds_read_b32 v9, v2 offset:256
	v_mov_b32_e32 v3, 0
	s_waitcnt lgkmcnt(1)
	v_lshl_add_u64 v[6:7], v[6:7], 2, s[62:63]
	v_lshl_add_u64 v[6:7], v[6:7], 0, v[2:3]
	s_waitcnt lgkmcnt(0)
	global_store_dword v[6:7], v9, off
	s_or_b64 exec, exec, s[4:5]
	s_and_saveexec_b64 s[4:5], s[28:29]
	s_cbranch_execnz .LBB14_154
.LBB14_143:
	s_or_b64 exec, exec, s[4:5]
	s_and_saveexec_b64 s[4:5], s[30:31]
	s_cbranch_execz .LBB14_155
.LBB14_144:
	v_lshlrev_b32_e32 v3, 3, v50
	ds_read_b64 v[6:7], v3
	ds_read_b32 v3, v2 offset:4352
	v_mov_b32_e32 v15, 0
	s_waitcnt lgkmcnt(1)
	v_lshl_add_u64 v[6:7], v[6:7], 2, s[62:63]
	v_lshl_add_u64 v[6:7], v[6:7], 0, v[14:15]
	s_waitcnt lgkmcnt(0)
	global_store_dword v[6:7], v3, off
	s_or_b64 exec, exec, s[4:5]
	s_and_saveexec_b64 s[4:5], s[34:35]
	s_cbranch_execnz .LBB14_156
.LBB14_145:
	s_or_b64 exec, exec, s[4:5]
	s_and_saveexec_b64 s[4:5], s[36:37]
	s_cbranch_execz .LBB14_157
.LBB14_146:
	v_lshlrev_b32_e32 v3, 3, v49
	ds_read_b64 v[6:7], v3
	ds_read_b32 v3, v2 offset:8448
	v_mov_b32_e32 v19, 0
	s_waitcnt lgkmcnt(1)
	v_lshl_add_u64 v[6:7], v[6:7], 2, s[62:63]
	v_lshl_add_u64 v[6:7], v[6:7], 0, v[18:19]
	s_waitcnt lgkmcnt(0)
	global_store_dword v[6:7], v3, off
	s_or_b64 exec, exec, s[4:5]
	s_and_saveexec_b64 s[4:5], s[38:39]
	s_cbranch_execnz .LBB14_158
.LBB14_147:
	s_or_b64 exec, exec, s[4:5]
	s_and_saveexec_b64 s[4:5], s[40:41]
	s_cbranch_execz .LBB14_159
.LBB14_148:
	v_lshlrev_b32_e32 v3, 3, v46
	ds_read_b64 v[6:7], v3
	ds_read_b32 v3, v2 offset:12544
	v_mov_b32_e32 v23, 0
	s_waitcnt lgkmcnt(1)
	v_lshl_add_u64 v[6:7], v[6:7], 2, s[62:63]
	v_lshl_add_u64 v[6:7], v[6:7], 0, v[22:23]
	s_waitcnt lgkmcnt(0)
	global_store_dword v[6:7], v3, off
	s_or_b64 exec, exec, s[4:5]
	s_and_saveexec_b64 s[4:5], s[42:43]
	s_cbranch_execnz .LBB14_160
.LBB14_149:
	s_or_b64 exec, exec, s[4:5]
	s_and_saveexec_b64 s[4:5], s[44:45]
	s_cbranch_execz .LBB14_161
.LBB14_150:
	v_lshlrev_b32_e32 v3, 3, v29
	ds_read_b64 v[6:7], v3
	ds_read_b32 v3, v2 offset:16640
	v_mov_b32_e32 v27, 0
	s_waitcnt lgkmcnt(1)
	v_lshl_add_u64 v[6:7], v[6:7], 2, s[62:63]
	v_lshl_add_u64 v[6:7], v[6:7], 0, v[26:27]
	s_waitcnt lgkmcnt(0)
	global_store_dword v[6:7], v3, off
	s_or_b64 exec, exec, s[4:5]
	s_and_saveexec_b64 s[4:5], s[46:47]
	s_cbranch_execnz .LBB14_162
.LBB14_151:
	s_or_b64 exec, exec, s[4:5]
	s_and_saveexec_b64 s[4:5], s[48:49]
	s_cbranch_execz .LBB14_163
.LBB14_152:
	v_lshlrev_b32_e32 v3, 3, v31
	ds_read_b64 v[6:7], v3
	ds_read_b32 v3, v2 offset:20736
	v_mov_b32_e32 v31, 0
	s_waitcnt lgkmcnt(1)
	v_lshl_add_u64 v[6:7], v[6:7], 2, s[62:63]
	v_lshl_add_u64 v[6:7], v[6:7], 0, v[30:31]
	s_waitcnt lgkmcnt(0)
	global_store_dword v[6:7], v3, off
	s_or_b64 exec, exec, s[4:5]
	s_and_saveexec_b64 s[4:5], s[50:51]
	s_cbranch_execnz .LBB14_164
	s_branch .LBB14_165
.LBB14_153:
	s_or_b64 exec, exec, s[4:5]
	s_and_saveexec_b64 s[4:5], s[28:29]
	s_cbranch_execz .LBB14_143
.LBB14_154:
	v_lshlrev_b32_e32 v3, 3, v47
	ds_read_b64 v[6:7], v3
	ds_read_b32 v9, v2 offset:2304
	v_mov_b32_e32 v3, 0
	s_waitcnt lgkmcnt(1)
	v_lshl_add_u64 v[6:7], v[6:7], 2, s[62:63]
	v_lshl_add_u64 v[6:7], v[6:7], 0, v[2:3]
	s_waitcnt lgkmcnt(0)
	global_store_dword v[6:7], v9, off offset:2048
	s_or_b64 exec, exec, s[4:5]
	s_and_saveexec_b64 s[4:5], s[30:31]
	s_cbranch_execnz .LBB14_144
.LBB14_155:
	s_or_b64 exec, exec, s[4:5]
	s_and_saveexec_b64 s[4:5], s[34:35]
	s_cbranch_execz .LBB14_145
.LBB14_156:
	v_lshlrev_b32_e32 v3, 3, v45
	ds_read_b64 v[6:7], v3
	ds_read_b32 v3, v2 offset:6400
	v_mov_b32_e32 v17, 0
	s_waitcnt lgkmcnt(1)
	v_lshl_add_u64 v[6:7], v[6:7], 2, s[62:63]
	v_lshl_add_u64 v[6:7], v[6:7], 0, v[16:17]
	s_waitcnt lgkmcnt(0)
	global_store_dword v[6:7], v3, off
	s_or_b64 exec, exec, s[4:5]
	s_and_saveexec_b64 s[4:5], s[36:37]
	s_cbranch_execnz .LBB14_146
.LBB14_157:
	s_or_b64 exec, exec, s[4:5]
	s_and_saveexec_b64 s[4:5], s[38:39]
	s_cbranch_execz .LBB14_147
.LBB14_158:
	v_lshlrev_b32_e32 v3, 3, v27
	ds_read_b64 v[6:7], v3
	ds_read_b32 v3, v2 offset:10496
	v_mov_b32_e32 v21, 0
	s_waitcnt lgkmcnt(1)
	v_lshl_add_u64 v[6:7], v[6:7], 2, s[62:63]
	v_lshl_add_u64 v[6:7], v[6:7], 0, v[20:21]
	s_waitcnt lgkmcnt(0)
	global_store_dword v[6:7], v3, off
	s_or_b64 exec, exec, s[4:5]
	s_and_saveexec_b64 s[4:5], s[40:41]
	s_cbranch_execnz .LBB14_148
.LBB14_159:
	s_or_b64 exec, exec, s[4:5]
	s_and_saveexec_b64 s[4:5], s[42:43]
	s_cbranch_execz .LBB14_149
.LBB14_160:
	v_lshlrev_b32_e32 v3, 3, v25
	ds_read_b64 v[6:7], v3
	ds_read_b32 v3, v2 offset:14592
	v_mov_b32_e32 v25, 0
	s_waitcnt lgkmcnt(1)
	v_lshl_add_u64 v[6:7], v[6:7], 2, s[62:63]
	v_lshl_add_u64 v[6:7], v[6:7], 0, v[24:25]
	s_waitcnt lgkmcnt(0)
	global_store_dword v[6:7], v3, off
	s_or_b64 exec, exec, s[4:5]
	s_and_saveexec_b64 s[4:5], s[44:45]
	s_cbranch_execnz .LBB14_150
.LBB14_161:
	s_or_b64 exec, exec, s[4:5]
	s_and_saveexec_b64 s[4:5], s[46:47]
	s_cbranch_execz .LBB14_151
.LBB14_162:
	v_lshlrev_b32_e32 v3, 3, v5
	ds_read_b64 v[6:7], v3
	ds_read_b32 v3, v2 offset:18688
	v_mov_b32_e32 v29, 0
	s_waitcnt lgkmcnt(1)
	v_lshl_add_u64 v[6:7], v[6:7], 2, s[62:63]
	v_lshl_add_u64 v[6:7], v[6:7], 0, v[28:29]
	s_waitcnt lgkmcnt(0)
	global_store_dword v[6:7], v3, off
	s_or_b64 exec, exec, s[4:5]
	s_and_saveexec_b64 s[4:5], s[48:49]
	s_cbranch_execnz .LBB14_152
.LBB14_163:
	s_or_b64 exec, exec, s[4:5]
	s_and_saveexec_b64 s[4:5], s[50:51]
	s_cbranch_execz .LBB14_165
.LBB14_164:
	v_lshlrev_b32_e32 v3, 3, v4
	ds_read_b64 v[4:5], v3
	ds_read_b32 v6, v2 offset:22784
	v_mov_b32_e32 v9, 0
	s_waitcnt lgkmcnt(1)
	v_lshl_add_u64 v[2:3], v[4:5], 2, s[62:63]
	v_lshl_add_u64 v[2:3], v[2:3], 0, v[8:9]
	s_waitcnt lgkmcnt(0)
	global_store_dword v[2:3], v6, off
.LBB14_165:
	s_or_b64 exec, exec, s[4:5]
	s_add_i32 s3, s3, -1
	s_cmp_eq_u32 s2, s3
	s_cselect_b64 s[4:5], -1, 0
	s_xor_b64 s[6:7], s[24:25], -1
	s_and_b64 s[6:7], s[6:7], s[4:5]
	s_and_saveexec_b64 s[4:5], s[6:7]
	s_cbranch_execz .LBB14_167
; %bb.166:
	ds_read_b64 v[2:3], v32
	v_mov_b32_e32 v13, 0
	v_lshl_add_u64 v[4:5], v[10:11], 0, v[12:13]
	s_waitcnt lgkmcnt(0)
	v_lshl_add_u64 v[2:3], v[4:5], 0, v[2:3]
	global_store_dwordx2 v32, v[2:3], s[66:67]
.LBB14_167:
	s_or_b64 exec, exec, s[4:5]
	s_mov_b64 s[4:5], 0
.LBB14_168:
	s_and_b64 vcc, exec, s[4:5]
	s_cbranch_vccz .LBB14_215
; %bb.169:
	s_mov_b32 s73, 0
	s_lshl_b64 s[10:11], s[72:73], 2
	s_add_u32 s4, s56, s10
	v_mov_b32_e32 v9, 0
	v_mbcnt_hi_u32_b32 v1, -1, v1
	v_and_b32_e32 v7, 0x1c0, v0
	s_addc_u32 s5, s57, s11
	v_mul_u32_u24_e32 v4, 12, v7
	v_lshlrev_b32_e32 v2, 2, v1
	v_mov_b32_e32 v3, v9
	v_lshl_add_u64 v[10:11], s[4:5], 0, v[2:3]
	v_lshlrev_b32_e32 v4, 2, v4
	v_mov_b32_e32 v5, v9
	v_lshl_add_u64 v[10:11], v[10:11], 0, v[4:5]
	global_load_dword v3, v[10:11], off
	s_load_dword s4, s[0:1], 0x5c
	s_load_dword s3, s[0:1], 0x50
	s_add_u32 s0, s0, 0x50
	s_addc_u32 s1, s1, 0
	v_bfe_u32 v8, v0, 10, 10
	s_waitcnt lgkmcnt(0)
	s_lshr_b32 s4, s4, 16
	s_cmp_lt_u32 s2, s3
	s_cselect_b32 s5, 12, 18
	s_add_u32 s0, s0, s5
	s_addc_u32 s1, s1, 0
	global_load_ushort v5, v9, s[0:1]
	global_load_dword v12, v[10:11], off offset:256
	global_load_dword v17, v[10:11], off offset:512
	;; [unrolled: 1-line block ×11, first 2 shown]
	v_bfe_u32 v11, v0, 20, 10
	v_mad_u32_u24 v13, v11, s4, v8
	s_lshl_b32 s0, -1, s69
	v_and_b32_e32 v6, 0x3ff, v0
	v_mov_b32_e32 v10, v9
	v_mov_b32_e32 v14, v9
	s_not_b32 s14, s0
	v_mov_b32_e32 v22, v9
	v_mov_b32_e32 v28, v9
	v_lshlrev_b32_e32 v0, 2, v6
	ds_write_b32 v0, v9 offset:32
	s_waitcnt lgkmcnt(0)
	s_barrier
	s_waitcnt vmcnt(12)
	; wave barrier
	v_xor_b32_e32 v3, 0x7fffffff, v3
	v_lshrrev_b32_e32 v8, s68, v3
	v_bitop3_b32 v16, v8, s0, v8 bitop3:0x30
	v_and_b32_e32 v8, 1, v16
	v_lshlrev_b32_e32 v11, 30, v16
	v_lshlrev_b32_e32 v15, 29, v16
	s_waitcnt vmcnt(11)
	v_mad_u64_u32 v[38:39], s[0:1], v13, v5, v[6:7]
	v_lshl_add_u64 v[42:43], v[8:9], 0, -1
	v_cmp_ne_u32_e32 vcc, 0, v8
	v_not_b32_e32 v5, v11
	v_lshlrev_b32_e32 v23, 28, v16
	v_lshlrev_b32_e32 v29, 27, v16
	v_cmp_gt_i64_e64 s[0:1], 0, v[10:11]
	v_cmp_gt_i64_e64 s[4:5], 0, v[14:15]
	v_not_b32_e32 v8, v15
	v_xor_b32_e32 v15, vcc_lo, v42
	v_ashrrev_i32_e32 v5, 31, v5
	v_mul_lo_u32 v18, v16, 36
	v_not_b32_e32 v10, v23
	v_not_b32_e32 v11, v29
	v_lshrrev_b32_e32 v25, 6, v38
	v_xor_b32_e32 v13, vcc_hi, v43
	v_ashrrev_i32_e32 v8, 31, v8
	v_and_b32_e32 v15, exec_lo, v15
	v_xor_b32_e32 v16, s1, v5
	v_xor_b32_e32 v5, s0, v5
	v_cmp_gt_i64_e64 s[6:7], 0, v[22:23]
	v_cmp_gt_i64_e64 s[8:9], 0, v[28:29]
	v_ashrrev_i32_e32 v10, 31, v10
	v_ashrrev_i32_e32 v11, 31, v11
	v_lshl_add_u32 v14, v25, 2, v18
	v_and_b32_e32 v13, exec_hi, v13
	v_xor_b32_e32 v18, s5, v8
	v_xor_b32_e32 v8, s4, v8
	v_and_b32_e32 v5, v15, v5
	v_xor_b32_e32 v20, s7, v10
	v_xor_b32_e32 v10, s6, v10
	;; [unrolled: 1-line block ×4, first 2 shown]
	v_and_b32_e32 v11, v13, v16
	v_and_b32_e32 v5, v5, v8
	;; [unrolled: 1-line block ×7, first 2 shown]
	v_mbcnt_lo_u32_b32 v5, v10, 0
	v_mbcnt_hi_u32_b32 v5, v11, v5
	v_cmp_eq_u32_e32 vcc, 0, v5
	v_cmp_ne_u64_e64 s[0:1], 0, v[10:11]
	s_and_b64 s[4:5], s[0:1], vcc
	s_and_saveexec_b64 s[0:1], s[4:5]
; %bb.170:
	v_bcnt_u32_b32 v8, v10, 0
	v_bcnt_u32_b32 v8, v11, v8
	ds_write_b32 v14, v8 offset:32
; %bb.171:
	s_or_b64 exec, exec, s[0:1]
	s_waitcnt vmcnt(10)
	v_xor_b32_e32 v12, 0x7fffffff, v12
	v_lshrrev_b32_e32 v8, s68, v12
	v_and_b32_e32 v15, s14, v8
	v_mul_lo_u32 v8, v15, 36
	v_lshl_add_u32 v16, v25, 2, v8
	v_and_b32_e32 v8, 1, v15
	v_lshl_add_u64 v[10:11], v[8:9], 0, -1
	v_cmp_ne_u32_e32 vcc, 0, v8
	; wave barrier
	s_nop 1
	v_xor_b32_e32 v10, vcc_lo, v10
	v_xor_b32_e32 v8, vcc_hi, v11
	v_and_b32_e32 v18, exec_lo, v10
	v_lshlrev_b32_e32 v11, 30, v15
	v_mov_b32_e32 v10, v9
	v_cmp_gt_i64_e32 vcc, 0, v[10:11]
	v_not_b32_e32 v10, v11
	v_ashrrev_i32_e32 v10, 31, v10
	v_and_b32_e32 v8, exec_hi, v8
	v_xor_b32_e32 v11, vcc_hi, v10
	v_xor_b32_e32 v10, vcc_lo, v10
	v_and_b32_e32 v8, v8, v11
	v_and_b32_e32 v18, v18, v10
	v_lshlrev_b32_e32 v11, 29, v15
	v_mov_b32_e32 v10, v9
	v_cmp_gt_i64_e32 vcc, 0, v[10:11]
	v_not_b32_e32 v10, v11
	v_ashrrev_i32_e32 v10, 31, v10
	v_xor_b32_e32 v11, vcc_hi, v10
	v_xor_b32_e32 v10, vcc_lo, v10
	v_and_b32_e32 v8, v8, v11
	v_and_b32_e32 v18, v18, v10
	v_lshlrev_b32_e32 v11, 28, v15
	v_mov_b32_e32 v10, v9
	v_cmp_gt_i64_e32 vcc, 0, v[10:11]
	v_not_b32_e32 v10, v11
	v_ashrrev_i32_e32 v10, 31, v10
	v_xor_b32_e32 v11, vcc_hi, v10
	v_xor_b32_e32 v10, vcc_lo, v10
	v_and_b32_e32 v8, v8, v11
	v_lshlrev_b32_e32 v11, 27, v15
	v_and_b32_e32 v18, v18, v10
	v_mov_b32_e32 v10, v9
	v_not_b32_e32 v9, v11
	v_cmp_gt_i64_e32 vcc, 0, v[10:11]
	v_ashrrev_i32_e32 v9, 31, v9
	ds_read_b32 v13, v16 offset:32
	v_xor_b32_e32 v10, vcc_hi, v9
	v_xor_b32_e32 v11, vcc_lo, v9
	v_and_b32_e32 v9, v8, v10
	v_and_b32_e32 v8, v18, v11
	v_mbcnt_lo_u32_b32 v10, v8, 0
	v_mbcnt_hi_u32_b32 v15, v9, v10
	v_cmp_eq_u32_e32 vcc, 0, v15
	v_cmp_ne_u64_e64 s[0:1], 0, v[8:9]
	s_and_b64 s[4:5], s[0:1], vcc
	; wave barrier
	s_and_saveexec_b64 s[0:1], s[4:5]
	s_cbranch_execz .LBB14_173
; %bb.172:
	v_bcnt_u32_b32 v8, v8, 0
	v_bcnt_u32_b32 v8, v9, v8
	s_waitcnt lgkmcnt(0)
	v_add_u32_e32 v8, v13, v8
	ds_write_b32 v16, v8 offset:32
.LBB14_173:
	s_or_b64 exec, exec, s[0:1]
	s_waitcnt vmcnt(9)
	v_xor_b32_e32 v17, 0x7fffffff, v17
	v_lshrrev_b32_e32 v8, s68, v17
	v_and_b32_e32 v20, s14, v8
	v_mul_lo_u32 v8, v20, 36
	v_lshl_add_u32 v22, v25, 2, v8
	v_and_b32_e32 v8, 1, v20
	v_mov_b32_e32 v9, 0
	v_lshl_add_u64 v[10:11], v[8:9], 0, -1
	v_cmp_ne_u32_e32 vcc, 0, v8
	; wave barrier
	s_nop 1
	v_xor_b32_e32 v10, vcc_lo, v10
	v_xor_b32_e32 v8, vcc_hi, v11
	v_and_b32_e32 v23, exec_lo, v10
	v_lshlrev_b32_e32 v11, 30, v20
	v_mov_b32_e32 v10, v9
	v_cmp_gt_i64_e32 vcc, 0, v[10:11]
	v_not_b32_e32 v10, v11
	v_ashrrev_i32_e32 v10, 31, v10
	v_and_b32_e32 v8, exec_hi, v8
	v_xor_b32_e32 v11, vcc_hi, v10
	v_xor_b32_e32 v10, vcc_lo, v10
	v_and_b32_e32 v8, v8, v11
	v_and_b32_e32 v23, v23, v10
	v_lshlrev_b32_e32 v11, 29, v20
	v_mov_b32_e32 v10, v9
	v_cmp_gt_i64_e32 vcc, 0, v[10:11]
	v_not_b32_e32 v10, v11
	v_ashrrev_i32_e32 v10, 31, v10
	v_xor_b32_e32 v11, vcc_hi, v10
	v_xor_b32_e32 v10, vcc_lo, v10
	v_and_b32_e32 v8, v8, v11
	v_and_b32_e32 v23, v23, v10
	v_lshlrev_b32_e32 v11, 28, v20
	v_mov_b32_e32 v10, v9
	v_cmp_gt_i64_e32 vcc, 0, v[10:11]
	v_not_b32_e32 v10, v11
	v_ashrrev_i32_e32 v10, 31, v10
	;; [unrolled: 9-line block ×3, first 2 shown]
	v_xor_b32_e32 v11, vcc_hi, v10
	v_xor_b32_e32 v10, vcc_lo, v10
	ds_read_b32 v18, v22 offset:32
	v_and_b32_e32 v10, v23, v10
	v_and_b32_e32 v11, v8, v11
	v_mbcnt_lo_u32_b32 v8, v10, 0
	v_mbcnt_hi_u32_b32 v20, v11, v8
	v_cmp_eq_u32_e32 vcc, 0, v20
	v_cmp_ne_u64_e64 s[0:1], 0, v[10:11]
	s_and_b64 s[4:5], s[0:1], vcc
	; wave barrier
	s_and_saveexec_b64 s[0:1], s[4:5]
	s_cbranch_execz .LBB14_175
; %bb.174:
	v_bcnt_u32_b32 v8, v10, 0
	v_bcnt_u32_b32 v8, v11, v8
	s_waitcnt lgkmcnt(0)
	v_add_u32_e32 v8, v18, v8
	ds_write_b32 v22, v8 offset:32
.LBB14_175:
	s_or_b64 exec, exec, s[0:1]
	s_waitcnt vmcnt(8)
	v_xor_b32_e32 v21, 0x7fffffff, v21
	v_lshrrev_b32_e32 v8, s68, v21
	v_and_b32_e32 v26, s14, v8
	v_mul_lo_u32 v8, v26, 36
	v_lshl_add_u32 v28, v25, 2, v8
	v_and_b32_e32 v8, 1, v26
	v_lshl_add_u64 v[10:11], v[8:9], 0, -1
	v_cmp_ne_u32_e32 vcc, 0, v8
	; wave barrier
	s_nop 1
	v_xor_b32_e32 v10, vcc_lo, v10
	v_xor_b32_e32 v8, vcc_hi, v11
	v_and_b32_e32 v29, exec_lo, v10
	v_lshlrev_b32_e32 v11, 30, v26
	v_mov_b32_e32 v10, v9
	v_cmp_gt_i64_e32 vcc, 0, v[10:11]
	v_not_b32_e32 v10, v11
	v_ashrrev_i32_e32 v10, 31, v10
	v_and_b32_e32 v8, exec_hi, v8
	v_xor_b32_e32 v11, vcc_hi, v10
	v_xor_b32_e32 v10, vcc_lo, v10
	v_and_b32_e32 v8, v8, v11
	v_and_b32_e32 v29, v29, v10
	v_lshlrev_b32_e32 v11, 29, v26
	v_mov_b32_e32 v10, v9
	v_cmp_gt_i64_e32 vcc, 0, v[10:11]
	v_not_b32_e32 v10, v11
	v_ashrrev_i32_e32 v10, 31, v10
	v_xor_b32_e32 v11, vcc_hi, v10
	v_xor_b32_e32 v10, vcc_lo, v10
	v_and_b32_e32 v8, v8, v11
	v_and_b32_e32 v29, v29, v10
	v_lshlrev_b32_e32 v11, 28, v26
	v_mov_b32_e32 v10, v9
	v_cmp_gt_i64_e32 vcc, 0, v[10:11]
	v_not_b32_e32 v10, v11
	v_ashrrev_i32_e32 v10, 31, v10
	v_xor_b32_e32 v11, vcc_hi, v10
	v_xor_b32_e32 v10, vcc_lo, v10
	v_and_b32_e32 v8, v8, v11
	v_lshlrev_b32_e32 v11, 27, v26
	v_and_b32_e32 v29, v29, v10
	v_mov_b32_e32 v10, v9
	v_not_b32_e32 v9, v11
	v_cmp_gt_i64_e32 vcc, 0, v[10:11]
	v_ashrrev_i32_e32 v9, 31, v9
	ds_read_b32 v23, v28 offset:32
	v_xor_b32_e32 v10, vcc_hi, v9
	v_xor_b32_e32 v11, vcc_lo, v9
	v_and_b32_e32 v9, v8, v10
	v_and_b32_e32 v8, v29, v11
	v_mbcnt_lo_u32_b32 v10, v8, 0
	v_mbcnt_hi_u32_b32 v26, v9, v10
	v_cmp_eq_u32_e32 vcc, 0, v26
	v_cmp_ne_u64_e64 s[0:1], 0, v[8:9]
	s_and_b64 s[4:5], s[0:1], vcc
	; wave barrier
	s_and_saveexec_b64 s[0:1], s[4:5]
	s_cbranch_execz .LBB14_177
; %bb.176:
	v_bcnt_u32_b32 v8, v8, 0
	v_bcnt_u32_b32 v8, v9, v8
	s_waitcnt lgkmcnt(0)
	v_add_u32_e32 v8, v23, v8
	ds_write_b32 v28, v8 offset:32
.LBB14_177:
	s_or_b64 exec, exec, s[0:1]
	s_waitcnt vmcnt(7)
	v_xor_b32_e32 v27, 0x7fffffff, v27
	v_lshrrev_b32_e32 v8, s68, v27
	v_and_b32_e32 v31, s14, v8
	v_mul_lo_u32 v8, v31, 36
	v_lshl_add_u32 v33, v25, 2, v8
	v_and_b32_e32 v8, 1, v31
	v_mov_b32_e32 v9, 0
	v_lshl_add_u64 v[10:11], v[8:9], 0, -1
	v_cmp_ne_u32_e32 vcc, 0, v8
	; wave barrier
	s_nop 1
	v_xor_b32_e32 v10, vcc_lo, v10
	v_xor_b32_e32 v8, vcc_hi, v11
	v_and_b32_e32 v34, exec_lo, v10
	v_lshlrev_b32_e32 v11, 30, v31
	v_mov_b32_e32 v10, v9
	v_cmp_gt_i64_e32 vcc, 0, v[10:11]
	v_not_b32_e32 v10, v11
	v_ashrrev_i32_e32 v10, 31, v10
	v_and_b32_e32 v8, exec_hi, v8
	v_xor_b32_e32 v11, vcc_hi, v10
	v_xor_b32_e32 v10, vcc_lo, v10
	v_and_b32_e32 v8, v8, v11
	v_and_b32_e32 v34, v34, v10
	v_lshlrev_b32_e32 v11, 29, v31
	v_mov_b32_e32 v10, v9
	v_cmp_gt_i64_e32 vcc, 0, v[10:11]
	v_not_b32_e32 v10, v11
	v_ashrrev_i32_e32 v10, 31, v10
	v_xor_b32_e32 v11, vcc_hi, v10
	v_xor_b32_e32 v10, vcc_lo, v10
	v_and_b32_e32 v8, v8, v11
	v_and_b32_e32 v34, v34, v10
	v_lshlrev_b32_e32 v11, 28, v31
	v_mov_b32_e32 v10, v9
	v_cmp_gt_i64_e32 vcc, 0, v[10:11]
	v_not_b32_e32 v10, v11
	v_ashrrev_i32_e32 v10, 31, v10
	;; [unrolled: 9-line block ×3, first 2 shown]
	v_xor_b32_e32 v11, vcc_hi, v10
	v_xor_b32_e32 v10, vcc_lo, v10
	ds_read_b32 v29, v33 offset:32
	v_and_b32_e32 v10, v34, v10
	v_and_b32_e32 v11, v8, v11
	v_mbcnt_lo_u32_b32 v8, v10, 0
	v_mbcnt_hi_u32_b32 v31, v11, v8
	v_cmp_eq_u32_e32 vcc, 0, v31
	v_cmp_ne_u64_e64 s[0:1], 0, v[10:11]
	s_and_b64 s[4:5], s[0:1], vcc
	; wave barrier
	s_and_saveexec_b64 s[0:1], s[4:5]
	s_cbranch_execz .LBB14_179
; %bb.178:
	v_bcnt_u32_b32 v8, v10, 0
	v_bcnt_u32_b32 v8, v11, v8
	s_waitcnt lgkmcnt(0)
	v_add_u32_e32 v8, v29, v8
	ds_write_b32 v33, v8 offset:32
.LBB14_179:
	s_or_b64 exec, exec, s[0:1]
	s_waitcnt vmcnt(6)
	v_xor_b32_e32 v32, 0x7fffffff, v32
	v_lshrrev_b32_e32 v8, s68, v32
	v_and_b32_e32 v36, s14, v8
	v_mul_lo_u32 v8, v36, 36
	v_lshl_add_u32 v39, v25, 2, v8
	v_and_b32_e32 v8, 1, v36
	v_lshl_add_u64 v[10:11], v[8:9], 0, -1
	v_cmp_ne_u32_e32 vcc, 0, v8
	; wave barrier
	s_nop 1
	v_xor_b32_e32 v10, vcc_lo, v10
	v_xor_b32_e32 v8, vcc_hi, v11
	v_and_b32_e32 v38, exec_lo, v10
	v_lshlrev_b32_e32 v11, 30, v36
	v_mov_b32_e32 v10, v9
	v_cmp_gt_i64_e32 vcc, 0, v[10:11]
	v_not_b32_e32 v10, v11
	v_ashrrev_i32_e32 v10, 31, v10
	v_and_b32_e32 v8, exec_hi, v8
	v_xor_b32_e32 v11, vcc_hi, v10
	v_xor_b32_e32 v10, vcc_lo, v10
	v_and_b32_e32 v8, v8, v11
	v_and_b32_e32 v38, v38, v10
	v_lshlrev_b32_e32 v11, 29, v36
	v_mov_b32_e32 v10, v9
	v_cmp_gt_i64_e32 vcc, 0, v[10:11]
	v_not_b32_e32 v10, v11
	v_ashrrev_i32_e32 v10, 31, v10
	v_xor_b32_e32 v11, vcc_hi, v10
	v_xor_b32_e32 v10, vcc_lo, v10
	v_and_b32_e32 v8, v8, v11
	v_and_b32_e32 v38, v38, v10
	v_lshlrev_b32_e32 v11, 28, v36
	v_mov_b32_e32 v10, v9
	v_cmp_gt_i64_e32 vcc, 0, v[10:11]
	v_not_b32_e32 v10, v11
	v_ashrrev_i32_e32 v10, 31, v10
	v_xor_b32_e32 v11, vcc_hi, v10
	v_xor_b32_e32 v10, vcc_lo, v10
	v_and_b32_e32 v8, v8, v11
	v_lshlrev_b32_e32 v11, 27, v36
	v_and_b32_e32 v38, v38, v10
	v_mov_b32_e32 v10, v9
	v_not_b32_e32 v9, v11
	v_cmp_gt_i64_e32 vcc, 0, v[10:11]
	v_ashrrev_i32_e32 v9, 31, v9
	ds_read_b32 v34, v39 offset:32
	v_xor_b32_e32 v10, vcc_hi, v9
	v_xor_b32_e32 v11, vcc_lo, v9
	v_and_b32_e32 v9, v8, v10
	v_and_b32_e32 v8, v38, v11
	v_mbcnt_lo_u32_b32 v10, v8, 0
	v_mbcnt_hi_u32_b32 v36, v9, v10
	v_cmp_eq_u32_e32 vcc, 0, v36
	v_cmp_ne_u64_e64 s[0:1], 0, v[8:9]
	s_and_b64 s[4:5], s[0:1], vcc
	; wave barrier
	s_and_saveexec_b64 s[0:1], s[4:5]
	s_cbranch_execz .LBB14_181
; %bb.180:
	v_bcnt_u32_b32 v8, v8, 0
	v_bcnt_u32_b32 v8, v9, v8
	s_waitcnt lgkmcnt(0)
	v_add_u32_e32 v8, v34, v8
	ds_write_b32 v39, v8 offset:32
.LBB14_181:
	s_or_b64 exec, exec, s[0:1]
	s_waitcnt vmcnt(5)
	v_xor_b32_e32 v37, 0x7fffffff, v37
	v_lshrrev_b32_e32 v8, s68, v37
	v_and_b32_e32 v41, s14, v8
	v_mul_lo_u32 v8, v41, 36
	v_lshl_add_u32 v43, v25, 2, v8
	v_and_b32_e32 v8, 1, v41
	v_mov_b32_e32 v9, 0
	v_lshl_add_u64 v[10:11], v[8:9], 0, -1
	v_cmp_ne_u32_e32 vcc, 0, v8
	; wave barrier
	s_nop 1
	v_xor_b32_e32 v10, vcc_lo, v10
	v_xor_b32_e32 v8, vcc_hi, v11
	v_and_b32_e32 v42, exec_lo, v10
	v_lshlrev_b32_e32 v11, 30, v41
	v_mov_b32_e32 v10, v9
	v_cmp_gt_i64_e32 vcc, 0, v[10:11]
	v_not_b32_e32 v10, v11
	v_ashrrev_i32_e32 v10, 31, v10
	v_and_b32_e32 v8, exec_hi, v8
	v_xor_b32_e32 v11, vcc_hi, v10
	v_xor_b32_e32 v10, vcc_lo, v10
	v_and_b32_e32 v8, v8, v11
	v_and_b32_e32 v42, v42, v10
	v_lshlrev_b32_e32 v11, 29, v41
	v_mov_b32_e32 v10, v9
	v_cmp_gt_i64_e32 vcc, 0, v[10:11]
	v_not_b32_e32 v10, v11
	v_ashrrev_i32_e32 v10, 31, v10
	v_xor_b32_e32 v11, vcc_hi, v10
	v_xor_b32_e32 v10, vcc_lo, v10
	v_and_b32_e32 v8, v8, v11
	v_and_b32_e32 v42, v42, v10
	v_lshlrev_b32_e32 v11, 28, v41
	v_mov_b32_e32 v10, v9
	v_cmp_gt_i64_e32 vcc, 0, v[10:11]
	v_not_b32_e32 v10, v11
	v_ashrrev_i32_e32 v10, 31, v10
	;; [unrolled: 9-line block ×3, first 2 shown]
	v_xor_b32_e32 v11, vcc_hi, v10
	v_xor_b32_e32 v10, vcc_lo, v10
	ds_read_b32 v38, v43 offset:32
	v_and_b32_e32 v10, v42, v10
	v_and_b32_e32 v11, v8, v11
	v_mbcnt_lo_u32_b32 v8, v10, 0
	v_mbcnt_hi_u32_b32 v41, v11, v8
	v_cmp_eq_u32_e32 vcc, 0, v41
	v_cmp_ne_u64_e64 s[0:1], 0, v[10:11]
	s_and_b64 s[4:5], s[0:1], vcc
	; wave barrier
	s_and_saveexec_b64 s[0:1], s[4:5]
	s_cbranch_execz .LBB14_183
; %bb.182:
	v_bcnt_u32_b32 v8, v10, 0
	v_bcnt_u32_b32 v8, v11, v8
	s_waitcnt lgkmcnt(0)
	v_add_u32_e32 v8, v38, v8
	ds_write_b32 v43, v8 offset:32
.LBB14_183:
	s_or_b64 exec, exec, s[0:1]
	s_waitcnt vmcnt(4)
	v_xor_b32_e32 v40, 0x7fffffff, v40
	v_lshrrev_b32_e32 v8, s68, v40
	v_and_b32_e32 v44, s14, v8
	v_mul_lo_u32 v8, v44, 36
	v_lshl_add_u32 v46, v25, 2, v8
	v_and_b32_e32 v8, 1, v44
	v_lshl_add_u64 v[10:11], v[8:9], 0, -1
	v_cmp_ne_u32_e32 vcc, 0, v8
	; wave barrier
	s_nop 1
	v_xor_b32_e32 v10, vcc_lo, v10
	v_xor_b32_e32 v8, vcc_hi, v11
	v_and_b32_e32 v45, exec_lo, v10
	v_lshlrev_b32_e32 v11, 30, v44
	v_mov_b32_e32 v10, v9
	v_cmp_gt_i64_e32 vcc, 0, v[10:11]
	v_not_b32_e32 v10, v11
	v_ashrrev_i32_e32 v10, 31, v10
	v_and_b32_e32 v8, exec_hi, v8
	v_xor_b32_e32 v11, vcc_hi, v10
	v_xor_b32_e32 v10, vcc_lo, v10
	v_and_b32_e32 v8, v8, v11
	v_and_b32_e32 v45, v45, v10
	v_lshlrev_b32_e32 v11, 29, v44
	v_mov_b32_e32 v10, v9
	v_cmp_gt_i64_e32 vcc, 0, v[10:11]
	v_not_b32_e32 v10, v11
	v_ashrrev_i32_e32 v10, 31, v10
	v_xor_b32_e32 v11, vcc_hi, v10
	v_xor_b32_e32 v10, vcc_lo, v10
	v_and_b32_e32 v8, v8, v11
	v_and_b32_e32 v45, v45, v10
	v_lshlrev_b32_e32 v11, 28, v44
	v_mov_b32_e32 v10, v9
	v_cmp_gt_i64_e32 vcc, 0, v[10:11]
	v_not_b32_e32 v10, v11
	v_ashrrev_i32_e32 v10, 31, v10
	v_xor_b32_e32 v11, vcc_hi, v10
	v_xor_b32_e32 v10, vcc_lo, v10
	v_and_b32_e32 v8, v8, v11
	v_lshlrev_b32_e32 v11, 27, v44
	v_and_b32_e32 v45, v45, v10
	v_mov_b32_e32 v10, v9
	v_not_b32_e32 v9, v11
	v_cmp_gt_i64_e32 vcc, 0, v[10:11]
	v_ashrrev_i32_e32 v9, 31, v9
	ds_read_b32 v42, v46 offset:32
	v_xor_b32_e32 v10, vcc_hi, v9
	v_xor_b32_e32 v11, vcc_lo, v9
	v_and_b32_e32 v9, v8, v10
	v_and_b32_e32 v8, v45, v11
	v_mbcnt_lo_u32_b32 v10, v8, 0
	v_mbcnt_hi_u32_b32 v44, v9, v10
	v_cmp_eq_u32_e32 vcc, 0, v44
	v_cmp_ne_u64_e64 s[0:1], 0, v[8:9]
	s_and_b64 s[4:5], s[0:1], vcc
	; wave barrier
	s_and_saveexec_b64 s[0:1], s[4:5]
	s_cbranch_execz .LBB14_185
; %bb.184:
	v_bcnt_u32_b32 v8, v8, 0
	v_bcnt_u32_b32 v8, v9, v8
	s_waitcnt lgkmcnt(0)
	v_add_u32_e32 v8, v42, v8
	ds_write_b32 v46, v8 offset:32
.LBB14_185:
	s_or_b64 exec, exec, s[0:1]
	s_waitcnt vmcnt(3)
	v_xor_b32_e32 v35, 0x7fffffff, v35
	v_lshrrev_b32_e32 v8, s68, v35
	v_and_b32_e32 v47, s14, v8
	v_mul_lo_u32 v8, v47, 36
	v_lshl_add_u32 v49, v25, 2, v8
	v_and_b32_e32 v8, 1, v47
	v_mov_b32_e32 v9, 0
	v_lshl_add_u64 v[10:11], v[8:9], 0, -1
	v_cmp_ne_u32_e32 vcc, 0, v8
	; wave barrier
	s_nop 1
	v_xor_b32_e32 v10, vcc_lo, v10
	v_xor_b32_e32 v8, vcc_hi, v11
	v_and_b32_e32 v48, exec_lo, v10
	v_lshlrev_b32_e32 v11, 30, v47
	v_mov_b32_e32 v10, v9
	v_cmp_gt_i64_e32 vcc, 0, v[10:11]
	v_not_b32_e32 v10, v11
	v_ashrrev_i32_e32 v10, 31, v10
	v_and_b32_e32 v8, exec_hi, v8
	v_xor_b32_e32 v11, vcc_hi, v10
	v_xor_b32_e32 v10, vcc_lo, v10
	v_and_b32_e32 v8, v8, v11
	v_and_b32_e32 v48, v48, v10
	v_lshlrev_b32_e32 v11, 29, v47
	v_mov_b32_e32 v10, v9
	v_cmp_gt_i64_e32 vcc, 0, v[10:11]
	v_not_b32_e32 v10, v11
	v_ashrrev_i32_e32 v10, 31, v10
	v_xor_b32_e32 v11, vcc_hi, v10
	v_xor_b32_e32 v10, vcc_lo, v10
	v_and_b32_e32 v8, v8, v11
	v_and_b32_e32 v48, v48, v10
	v_lshlrev_b32_e32 v11, 28, v47
	v_mov_b32_e32 v10, v9
	v_cmp_gt_i64_e32 vcc, 0, v[10:11]
	v_not_b32_e32 v10, v11
	v_ashrrev_i32_e32 v10, 31, v10
	;; [unrolled: 9-line block ×3, first 2 shown]
	v_xor_b32_e32 v11, vcc_hi, v10
	v_xor_b32_e32 v10, vcc_lo, v10
	ds_read_b32 v45, v49 offset:32
	v_and_b32_e32 v10, v48, v10
	v_and_b32_e32 v11, v8, v11
	v_mbcnt_lo_u32_b32 v8, v10, 0
	v_mbcnt_hi_u32_b32 v47, v11, v8
	v_cmp_eq_u32_e32 vcc, 0, v47
	v_cmp_ne_u64_e64 s[0:1], 0, v[10:11]
	s_and_b64 s[4:5], s[0:1], vcc
	; wave barrier
	s_and_saveexec_b64 s[0:1], s[4:5]
	s_cbranch_execz .LBB14_187
; %bb.186:
	v_bcnt_u32_b32 v8, v10, 0
	v_bcnt_u32_b32 v8, v11, v8
	s_waitcnt lgkmcnt(0)
	v_add_u32_e32 v8, v45, v8
	ds_write_b32 v49, v8 offset:32
.LBB14_187:
	s_or_b64 exec, exec, s[0:1]
	s_waitcnt vmcnt(2)
	v_xor_b32_e32 v30, 0x7fffffff, v30
	v_lshrrev_b32_e32 v8, s68, v30
	v_and_b32_e32 v50, s14, v8
	v_mul_lo_u32 v8, v50, 36
	v_lshl_add_u32 v53, v25, 2, v8
	v_and_b32_e32 v8, 1, v50
	v_lshl_add_u64 v[10:11], v[8:9], 0, -1
	v_cmp_ne_u32_e32 vcc, 0, v8
	; wave barrier
	s_nop 1
	v_xor_b32_e32 v10, vcc_lo, v10
	v_xor_b32_e32 v8, vcc_hi, v11
	v_and_b32_e32 v51, exec_lo, v10
	v_lshlrev_b32_e32 v11, 30, v50
	v_mov_b32_e32 v10, v9
	v_cmp_gt_i64_e32 vcc, 0, v[10:11]
	v_not_b32_e32 v10, v11
	v_ashrrev_i32_e32 v10, 31, v10
	v_and_b32_e32 v8, exec_hi, v8
	v_xor_b32_e32 v11, vcc_hi, v10
	v_xor_b32_e32 v10, vcc_lo, v10
	v_and_b32_e32 v8, v8, v11
	v_and_b32_e32 v51, v51, v10
	v_lshlrev_b32_e32 v11, 29, v50
	v_mov_b32_e32 v10, v9
	v_cmp_gt_i64_e32 vcc, 0, v[10:11]
	v_not_b32_e32 v10, v11
	v_ashrrev_i32_e32 v10, 31, v10
	v_xor_b32_e32 v11, vcc_hi, v10
	v_xor_b32_e32 v10, vcc_lo, v10
	v_and_b32_e32 v8, v8, v11
	v_and_b32_e32 v51, v51, v10
	v_lshlrev_b32_e32 v11, 28, v50
	v_mov_b32_e32 v10, v9
	v_cmp_gt_i64_e32 vcc, 0, v[10:11]
	v_not_b32_e32 v10, v11
	v_ashrrev_i32_e32 v10, 31, v10
	v_xor_b32_e32 v11, vcc_hi, v10
	v_xor_b32_e32 v10, vcc_lo, v10
	v_and_b32_e32 v8, v8, v11
	v_lshlrev_b32_e32 v11, 27, v50
	v_and_b32_e32 v51, v51, v10
	v_mov_b32_e32 v10, v9
	v_not_b32_e32 v9, v11
	v_cmp_gt_i64_e32 vcc, 0, v[10:11]
	v_ashrrev_i32_e32 v9, 31, v9
	ds_read_b32 v48, v53 offset:32
	v_xor_b32_e32 v10, vcc_hi, v9
	v_xor_b32_e32 v11, vcc_lo, v9
	v_and_b32_e32 v9, v8, v10
	v_and_b32_e32 v8, v51, v11
	v_mbcnt_lo_u32_b32 v10, v8, 0
	v_mbcnt_hi_u32_b32 v50, v9, v10
	v_cmp_eq_u32_e32 vcc, 0, v50
	v_cmp_ne_u64_e64 s[0:1], 0, v[8:9]
	s_and_b64 s[4:5], s[0:1], vcc
	; wave barrier
	s_and_saveexec_b64 s[0:1], s[4:5]
	s_cbranch_execz .LBB14_189
; %bb.188:
	v_bcnt_u32_b32 v8, v8, 0
	v_bcnt_u32_b32 v8, v9, v8
	s_waitcnt lgkmcnt(0)
	v_add_u32_e32 v8, v48, v8
	ds_write_b32 v53, v8 offset:32
.LBB14_189:
	s_or_b64 exec, exec, s[0:1]
	s_waitcnt vmcnt(1)
	v_xor_b32_e32 v51, 0x7fffffff, v24
	v_lshrrev_b32_e32 v8, s68, v51
	v_and_b32_e32 v54, s14, v8
	v_mul_lo_u32 v8, v54, 36
	v_lshl_add_u32 v24, v25, 2, v8
	v_and_b32_e32 v8, 1, v54
	v_mov_b32_e32 v9, 0
	v_lshl_add_u64 v[10:11], v[8:9], 0, -1
	v_cmp_ne_u32_e32 vcc, 0, v8
	; wave barrier
	s_nop 1
	v_xor_b32_e32 v10, vcc_lo, v10
	v_xor_b32_e32 v8, vcc_hi, v11
	v_and_b32_e32 v55, exec_lo, v10
	v_lshlrev_b32_e32 v11, 30, v54
	v_mov_b32_e32 v10, v9
	v_cmp_gt_i64_e32 vcc, 0, v[10:11]
	v_not_b32_e32 v10, v11
	v_ashrrev_i32_e32 v10, 31, v10
	v_and_b32_e32 v8, exec_hi, v8
	v_xor_b32_e32 v11, vcc_hi, v10
	v_xor_b32_e32 v10, vcc_lo, v10
	v_and_b32_e32 v8, v8, v11
	v_and_b32_e32 v55, v55, v10
	v_lshlrev_b32_e32 v11, 29, v54
	v_mov_b32_e32 v10, v9
	v_cmp_gt_i64_e32 vcc, 0, v[10:11]
	v_not_b32_e32 v10, v11
	v_ashrrev_i32_e32 v10, 31, v10
	v_xor_b32_e32 v11, vcc_hi, v10
	v_xor_b32_e32 v10, vcc_lo, v10
	v_and_b32_e32 v8, v8, v11
	v_and_b32_e32 v55, v55, v10
	v_lshlrev_b32_e32 v11, 28, v54
	v_mov_b32_e32 v10, v9
	v_cmp_gt_i64_e32 vcc, 0, v[10:11]
	v_not_b32_e32 v10, v11
	v_ashrrev_i32_e32 v10, 31, v10
	;; [unrolled: 9-line block ×3, first 2 shown]
	v_xor_b32_e32 v11, vcc_hi, v10
	v_xor_b32_e32 v10, vcc_lo, v10
	ds_read_b32 v52, v24 offset:32
	v_and_b32_e32 v10, v55, v10
	v_and_b32_e32 v11, v8, v11
	v_mbcnt_lo_u32_b32 v8, v10, 0
	v_mbcnt_hi_u32_b32 v54, v11, v8
	v_cmp_eq_u32_e32 vcc, 0, v54
	v_cmp_ne_u64_e64 s[0:1], 0, v[10:11]
	s_and_b64 s[4:5], s[0:1], vcc
	; wave barrier
	s_and_saveexec_b64 s[0:1], s[4:5]
	s_cbranch_execz .LBB14_191
; %bb.190:
	v_bcnt_u32_b32 v8, v10, 0
	v_bcnt_u32_b32 v8, v11, v8
	s_waitcnt lgkmcnt(0)
	v_add_u32_e32 v8, v52, v8
	ds_write_b32 v24, v8 offset:32
.LBB14_191:
	s_or_b64 exec, exec, s[0:1]
	s_waitcnt vmcnt(0)
	v_xor_b32_e32 v55, 0x7fffffff, v19
	v_lshrrev_b32_e32 v8, s68, v55
	v_and_b32_e32 v11, s14, v8
	v_mul_lo_u32 v8, v11, 36
	v_lshl_add_u32 v10, v25, 2, v8
	v_and_b32_e32 v8, 1, v11
	v_lshl_add_u64 v[58:59], v[8:9], 0, -1
	v_cmp_ne_u32_e32 vcc, 0, v8
	; wave barrier
	s_nop 1
	v_xor_b32_e32 v8, vcc_hi, v59
	v_lshlrev_b32_e32 v59, 30, v11
	v_xor_b32_e32 v19, vcc_lo, v58
	v_mov_b32_e32 v58, v9
	v_not_b32_e32 v25, v59
	v_cmp_gt_i64_e32 vcc, 0, v[58:59]
	v_ashrrev_i32_e32 v25, 31, v25
	v_and_b32_e32 v19, exec_lo, v19
	v_xor_b32_e32 v57, vcc_hi, v25
	v_xor_b32_e32 v25, vcc_lo, v25
	v_lshlrev_b32_e32 v59, 29, v11
	v_and_b32_e32 v19, v19, v25
	v_not_b32_e32 v25, v59
	v_and_b32_e32 v8, exec_hi, v8
	v_cmp_gt_i64_e32 vcc, 0, v[58:59]
	v_ashrrev_i32_e32 v25, 31, v25
	v_and_b32_e32 v8, v8, v57
	v_xor_b32_e32 v57, vcc_hi, v25
	v_xor_b32_e32 v25, vcc_lo, v25
	v_lshlrev_b32_e32 v59, 28, v11
	v_and_b32_e32 v19, v19, v25
	v_cmp_gt_i64_e32 vcc, 0, v[58:59]
	v_not_b32_e32 v25, v59
	v_lshlrev_b32_e32 v59, 27, v11
	v_ashrrev_i32_e32 v25, 31, v25
	v_not_b32_e32 v9, v59
	v_and_b32_e32 v8, v8, v57
	v_xor_b32_e32 v57, vcc_hi, v25
	v_xor_b32_e32 v25, vcc_lo, v25
	v_cmp_gt_i64_e32 vcc, 0, v[58:59]
	v_ashrrev_i32_e32 v9, 31, v9
	v_and_b32_e32 v8, v8, v57
	v_and_b32_e32 v19, v19, v25
	v_xor_b32_e32 v11, vcc_hi, v9
	v_xor_b32_e32 v25, vcc_lo, v9
	ds_read_b32 v56, v10 offset:32
	v_and_b32_e32 v9, v8, v11
	v_and_b32_e32 v8, v19, v25
	v_mbcnt_lo_u32_b32 v11, v8, 0
	v_mbcnt_hi_u32_b32 v57, v9, v11
	v_cmp_eq_u32_e32 vcc, 0, v57
	v_cmp_ne_u64_e64 s[0:1], 0, v[8:9]
	s_and_b64 s[4:5], s[0:1], vcc
	; wave barrier
	s_and_saveexec_b64 s[0:1], s[4:5]
	s_cbranch_execz .LBB14_193
; %bb.192:
	v_bcnt_u32_b32 v8, v8, 0
	v_bcnt_u32_b32 v8, v9, v8
	s_waitcnt lgkmcnt(0)
	v_add_u32_e32 v8, v56, v8
	ds_write_b32 v10, v8 offset:32
.LBB14_193:
	s_or_b64 exec, exec, s[0:1]
	; wave barrier
	s_waitcnt lgkmcnt(0)
	s_barrier
	ds_read_b32 v8, v0 offset:32
	v_and_b32_e32 v9, 15, v1
	v_cmp_ne_u32_e32 vcc, 0, v9
	v_min_u32_e32 v7, 0x1c0, v7
	v_or_b32_e32 v7, 63, v7
	s_waitcnt lgkmcnt(0)
	v_mov_b32_dpp v11, v8 row_shr:1 row_mask:0xf bank_mask:0xf
	v_cndmask_b32_e32 v11, 0, v11, vcc
	v_add_u32_e32 v8, v11, v8
	v_cmp_lt_u32_e32 vcc, 1, v9
	s_nop 0
	v_mov_b32_dpp v11, v8 row_shr:2 row_mask:0xf bank_mask:0xf
	v_cndmask_b32_e32 v11, 0, v11, vcc
	v_add_u32_e32 v8, v8, v11
	v_cmp_lt_u32_e32 vcc, 3, v9
	s_nop 0
	;; [unrolled: 5-line block ×3, first 2 shown]
	v_mov_b32_dpp v11, v8 row_shr:8 row_mask:0xf bank_mask:0xf
	v_cndmask_b32_e32 v9, 0, v11, vcc
	v_add_u32_e32 v8, v8, v9
	v_bfe_i32 v11, v1, 4, 1
	v_cmp_lt_u32_e32 vcc, 31, v1
	v_mov_b32_dpp v9, v8 row_bcast:15 row_mask:0xf bank_mask:0xf
	v_and_b32_e32 v9, v11, v9
	v_add_u32_e32 v8, v8, v9
	s_nop 1
	v_mov_b32_dpp v9, v8 row_bcast:31 row_mask:0xf bank_mask:0xf
	v_cndmask_b32_e32 v9, 0, v9, vcc
	v_add_u32_e32 v8, v8, v9
	v_lshrrev_b32_e32 v9, 6, v6
	v_cmp_eq_u32_e32 vcc, v6, v7
	s_and_saveexec_b64 s[0:1], vcc
; %bb.194:
	v_lshlrev_b32_e32 v7, 2, v9
	ds_write_b32 v7, v8
; %bb.195:
	s_or_b64 exec, exec, s[0:1]
	v_cmp_gt_u32_e32 vcc, 8, v6
	s_waitcnt lgkmcnt(0)
	s_barrier
	s_and_saveexec_b64 s[0:1], vcc
	s_cbranch_execz .LBB14_197
; %bb.196:
	ds_read_b32 v7, v0
	v_and_b32_e32 v11, 7, v1
	v_cmp_ne_u32_e32 vcc, 0, v11
	s_waitcnt lgkmcnt(0)
	v_mov_b32_dpp v19, v7 row_shr:1 row_mask:0xf bank_mask:0xf
	v_cndmask_b32_e32 v19, 0, v19, vcc
	v_add_u32_e32 v7, v19, v7
	v_cmp_lt_u32_e32 vcc, 1, v11
	s_nop 0
	v_mov_b32_dpp v19, v7 row_shr:2 row_mask:0xf bank_mask:0xf
	v_cndmask_b32_e32 v19, 0, v19, vcc
	v_add_u32_e32 v7, v7, v19
	v_cmp_lt_u32_e32 vcc, 3, v11
	s_nop 0
	v_mov_b32_dpp v19, v7 row_shr:4 row_mask:0xf bank_mask:0xf
	v_cndmask_b32_e32 v11, 0, v19, vcc
	v_add_u32_e32 v7, v7, v11
	ds_write_b32 v0, v7
.LBB14_197:
	s_or_b64 exec, exec, s[0:1]
	v_cmp_lt_u32_e32 vcc, 63, v6
	v_mov_b32_e32 v7, 0
	s_waitcnt lgkmcnt(0)
	s_barrier
	s_and_saveexec_b64 s[0:1], vcc
; %bb.198:
	v_lshl_add_u32 v7, v9, 2, -4
	ds_read_b32 v7, v7
; %bb.199:
	s_or_b64 exec, exec, s[0:1]
	v_add_u32_e32 v9, -1, v1
	v_and_b32_e32 v11, 64, v1
	v_cmp_lt_i32_e32 vcc, v9, v11
	s_waitcnt lgkmcnt(0)
	v_add_u32_e32 v8, v7, v8
	v_cmp_gt_u32_e64 s[0:1], 32, v6
	v_cndmask_b32_e32 v9, v9, v1, vcc
	v_lshlrev_b32_e32 v9, 2, v9
	ds_bpermute_b32 v8, v9, v8
	v_cmp_eq_u32_e32 vcc, 0, v1
	s_waitcnt lgkmcnt(0)
	s_nop 0
	v_cndmask_b32_e32 v1, v8, v7, vcc
	ds_write_b32 v0, v1 offset:32
	s_waitcnt lgkmcnt(0)
	s_barrier
	ds_read_b32 v11, v14 offset:32
	ds_read_b32 v19, v16 offset:32
	;; [unrolled: 1-line block ×12, first 2 shown]
	v_cmp_lt_u32_e32 vcc, 31, v6
	v_mov_b64_e32 v[8:9], 0
                                        ; implicit-def: $vgpr10
	s_and_saveexec_b64 s[6:7], s[0:1]
	s_cbranch_execz .LBB14_203
; %bb.200:
	v_mul_u32_u24_e32 v8, 36, v6
	ds_read_b32 v8, v8 offset:32
	v_add_u32_e32 v10, 1, v6
	v_cmp_ne_u32_e64 s[4:5], 32, v10
	v_mov_b32_e32 v9, 0x1800
	s_and_saveexec_b64 s[8:9], s[4:5]
; %bb.201:
	v_mul_u32_u24_e32 v9, 36, v10
	ds_read_b32 v9, v9 offset:32
; %bb.202:
	s_or_b64 exec, exec, s[8:9]
	s_waitcnt lgkmcnt(0)
	v_sub_u32_e32 v10, v9, v8
	v_mov_b32_e32 v9, 0
.LBB14_203:
	s_or_b64 exec, exec, s[6:7]
	v_lshlrev_b32_e32 v5, 2, v5
	s_waitcnt lgkmcnt(11)
	v_lshl_add_u32 v11, v11, 2, v5
	s_waitcnt lgkmcnt(0)
	s_barrier
	ds_write_b32 v11, v3 offset:256
	v_lshlrev_b32_e32 v3, 2, v19
	v_lshlrev_b32_e32 v5, 2, v15
	;; [unrolled: 1-line block ×3, first 2 shown]
	v_add3_u32 v19, v3, v5, v13
	ds_write_b32 v19, v12 offset:256
	v_lshlrev_b32_e32 v3, 2, v59
	v_lshlrev_b32_e32 v5, 2, v20
	;; [unrolled: 1-line block ×3, first 2 shown]
	v_add3_u32 v18, v3, v5, v12
	v_lshlrev_b32_e32 v3, 2, v58
	v_lshlrev_b32_e32 v5, 2, v26
	;; [unrolled: 1-line block ×3, first 2 shown]
	v_add3_u32 v20, v3, v5, v12
	v_lshlrev_b32_e32 v3, 2, v33
	v_lshlrev_b32_e32 v5, 2, v31
	;; [unrolled: 1-line block ×3, first 2 shown]
	ds_write_b32 v18, v17 offset:256
	ds_write_b32 v20, v21 offset:256
	v_add3_u32 v21, v3, v5, v12
	v_lshlrev_b32_e32 v3, 2, v22
	v_lshlrev_b32_e32 v5, 2, v36
	v_lshlrev_b32_e32 v12, 2, v34
	v_add3_u32 v22, v3, v5, v12
	v_lshlrev_b32_e32 v3, 2, v28
	v_lshlrev_b32_e32 v5, 2, v41
	v_lshlrev_b32_e32 v12, 2, v38
	;; [unrolled: 4-line block ×6, first 2 shown]
	ds_write_b32 v21, v27 offset:256
	v_add3_u32 v27, v3, v5, v7
	v_lshlrev_b32_e32 v1, 2, v1
	v_lshlrev_b32_e32 v3, 2, v57
	;; [unrolled: 1-line block ×3, first 2 shown]
	v_add3_u32 v28, v1, v3, v5
	v_lshlrev_b32_e32 v7, 3, v6
	ds_write_b32 v22, v32 offset:256
	ds_write_b32 v23, v37 offset:256
	;; [unrolled: 1-line block ×7, first 2 shown]
	s_waitcnt lgkmcnt(0)
	s_barrier
	s_and_saveexec_b64 s[4:5], s[0:1]
	s_cbranch_execz .LBB14_213
; %bb.204:
	v_lshl_add_u32 v14, s2, 5, v6
	v_mov_b32_e32 v15, 0
	v_lshl_add_u64 v[12:13], v[14:15], 2, s[54:55]
	v_or_b32_e32 v1, 2.0, v10
	global_store_dword v[12:13], v1, off sc1
	s_mov_b64 s[6:7], 0
	s_brev_b32 s15, -4
	s_mov_b32 s16, s2
	v_mov_b32_e32 v1, 0
                                        ; implicit-def: $sgpr0_sgpr1
	s_branch .LBB14_207
.LBB14_205:                             ;   in Loop: Header=BB14_207 Depth=1
	s_or_b64 exec, exec, s[12:13]
.LBB14_206:                             ;   in Loop: Header=BB14_207 Depth=1
	s_or_b64 exec, exec, s[8:9]
	v_and_b32_e32 v5, 0x3fffffff, v3
	v_add_u32_e32 v1, v5, v1
	v_cmp_gt_i32_e64 s[0:1], -2.0, v3
	s_and_b64 s[8:9], exec, s[0:1]
	s_or_b64 s[6:7], s[8:9], s[6:7]
	s_andn2_b64 exec, exec, s[6:7]
	s_cbranch_execz .LBB14_212
.LBB14_207:                             ; =>This Loop Header: Depth=1
                                        ;     Child Loop BB14_210 Depth 2
	s_or_b64 s[0:1], s[0:1], exec
	s_cmp_eq_u32 s16, 0
	s_cbranch_scc1 .LBB14_211
; %bb.208:                              ;   in Loop: Header=BB14_207 Depth=1
	s_add_i32 s16, s16, -1
	v_lshl_or_b32 v14, s16, 5, v6
	v_lshl_add_u64 v[16:17], v[14:15], 2, s[54:55]
	global_load_dword v3, v[16:17], off sc1
	s_waitcnt vmcnt(0)
	v_cmp_gt_u32_e64 s[0:1], 2.0, v3
	s_and_saveexec_b64 s[8:9], s[0:1]
	s_cbranch_execz .LBB14_206
; %bb.209:                              ;   in Loop: Header=BB14_207 Depth=1
	s_mov_b64 s[12:13], 0
.LBB14_210:                             ;   Parent Loop BB14_207 Depth=1
                                        ; =>  This Inner Loop Header: Depth=2
	global_load_dword v3, v[16:17], off sc1
	s_waitcnt vmcnt(0)
	v_cmp_lt_u32_e64 s[0:1], s15, v3
	s_or_b64 s[12:13], s[0:1], s[12:13]
	s_andn2_b64 exec, exec, s[12:13]
	s_cbranch_execnz .LBB14_210
	s_branch .LBB14_205
.LBB14_211:                             ;   in Loop: Header=BB14_207 Depth=1
                                        ; implicit-def: $sgpr16
	s_and_b64 s[8:9], exec, s[0:1]
	s_or_b64 s[6:7], s[8:9], s[6:7]
	s_andn2_b64 exec, exec, s[6:7]
	s_cbranch_execnz .LBB14_207
.LBB14_212:
	s_or_b64 exec, exec, s[6:7]
	v_add_u32_e32 v3, v1, v10
	v_or_b32_e32 v3, 0x80000000, v3
	global_store_dword v[12:13], v3, off sc1
	global_load_dwordx2 v[12:13], v7, s[64:65]
	v_sub_co_u32_e64 v14, s[0:1], v1, v8
	s_nop 1
	v_subb_co_u32_e64 v15, s[0:1], 0, v9, s[0:1]
	s_waitcnt vmcnt(0)
	v_lshl_add_u64 v[12:13], v[14:15], 0, v[12:13]
	ds_write_b64 v7, v[12:13]
.LBB14_213:
	s_or_b64 exec, exec, s[4:5]
	v_sub_u32_e32 v6, v7, v0
	s_waitcnt lgkmcnt(0)
	s_barrier
	ds_read2st64_b32 v[12:13], v6 offset0:1 offset1:9
	v_or_b32_e32 v40, 0x2000, v0
	v_or_b32_e32 v48, 0x4000, v0
	s_add_u32 s0, s60, s10
	s_addc_u32 s1, s61, s11
	s_waitcnt lgkmcnt(0)
	v_lshrrev_b32_e32 v1, s68, v12
	v_and_b32_e32 v1, s14, v1
	v_lshlrev_b32_e32 v29, 3, v1
	ds_read2st64_b32 v[14:15], v6 offset0:17 offset1:25
	ds_read_b64 v[16:17], v29
	v_lshrrev_b32_e32 v1, s68, v13
	v_and_b32_e32 v1, s14, v1
	v_lshlrev_b32_e32 v50, 3, v1
	s_waitcnt lgkmcnt(1)
	v_lshrrev_b32_e32 v1, s68, v14
	v_and_b32_e32 v1, s14, v1
	v_lshlrev_b32_e32 v51, 3, v1
	v_lshrrev_b32_e32 v1, s68, v15
	v_and_b32_e32 v1, s14, v1
	v_lshlrev_b32_e32 v52, 3, v1
	ds_read_b64 v[30:31], v50
	ds_read_b64 v[32:33], v51
	;; [unrolled: 1-line block ×3, first 2 shown]
	s_waitcnt lgkmcnt(3)
	v_lshl_add_u64 v[16:17], v[16:17], 2, s[58:59]
	v_mov_b32_e32 v1, 0
	v_xor_b32_e32 v3, 0x7fffffff, v12
	v_lshl_add_u64 v[16:17], v[16:17], 0, v[0:1]
	global_store_dword v[16:17], v3, off
	v_xor_b32_e32 v3, 0x7fffffff, v13
	s_waitcnt lgkmcnt(2)
	v_lshl_add_u64 v[12:13], v[30:31], 2, s[58:59]
	v_lshl_add_u64 v[12:13], v[12:13], 0, v[0:1]
	global_store_dword v[12:13], v3, off offset:2048
	s_waitcnt lgkmcnt(1)
	v_lshl_add_u64 v[12:13], v[32:33], 2, s[58:59]
	v_or_b32_e32 v16, 0x1000, v0
	v_mov_b32_e32 v17, v1
	v_xor_b32_e32 v3, 0x7fffffff, v14
	v_lshl_add_u64 v[12:13], v[12:13], 0, v[16:17]
	global_store_dword v[12:13], v3, off
	v_xor_b32_e32 v3, 0x7fffffff, v15
	ds_read2st64_b32 v[14:15], v6 offset0:33 offset1:41
	s_waitcnt lgkmcnt(1)
	v_lshl_add_u64 v[12:13], v[34:35], 2, s[58:59]
	v_add_u32_e32 v30, 0x1800, v0
	v_mov_b32_e32 v31, v1
	v_lshl_add_u64 v[12:13], v[12:13], 0, v[30:31]
	global_store_dword v[12:13], v3, off
	s_waitcnt lgkmcnt(0)
	v_lshrrev_b32_e32 v3, s68, v14
	v_and_b32_e32 v3, s14, v3
	v_lshlrev_b32_e32 v53, 3, v3
	ds_read2st64_b32 v[12:13], v6 offset0:49 offset1:57
	ds_read_b64 v[32:33], v53
	v_lshrrev_b32_e32 v3, s68, v15
	v_and_b32_e32 v3, s14, v3
	v_lshlrev_b32_e32 v54, 3, v3
	s_waitcnt lgkmcnt(1)
	v_lshrrev_b32_e32 v3, s68, v12
	v_and_b32_e32 v3, s14, v3
	v_lshlrev_b32_e32 v55, 3, v3
	v_lshrrev_b32_e32 v3, s68, v13
	v_and_b32_e32 v3, s14, v3
	v_lshlrev_b32_e32 v56, 3, v3
	ds_read_b64 v[34:35], v54
	ds_read_b64 v[36:37], v55
	;; [unrolled: 1-line block ×3, first 2 shown]
	s_waitcnt lgkmcnt(3)
	v_lshl_add_u64 v[32:33], v[32:33], 2, s[58:59]
	v_mov_b32_e32 v41, v1
	v_xor_b32_e32 v5, 0x7fffffff, v14
	v_lshl_add_u64 v[32:33], v[32:33], 0, v[40:41]
	global_store_dword v[32:33], v5, off
	v_xor_b32_e32 v3, 0x7fffffff, v15
	s_waitcnt lgkmcnt(2)
	v_lshl_add_u64 v[14:15], v[34:35], 2, s[58:59]
	v_add_u32_e32 v32, 0x2800, v0
	v_mov_b32_e32 v33, v1
	v_lshl_add_u64 v[14:15], v[14:15], 0, v[32:33]
	global_store_dword v[14:15], v3, off
	s_waitcnt lgkmcnt(1)
	v_lshl_add_u64 v[14:15], v[36:37], 2, s[58:59]
	v_or_b32_e32 v34, 0x3000, v0
	v_mov_b32_e32 v35, v1
	v_xor_b32_e32 v3, 0x7fffffff, v12
	v_lshl_add_u64 v[14:15], v[14:15], 0, v[34:35]
	global_store_dword v[14:15], v3, off
	ds_read2st64_b32 v[14:15], v6 offset0:65 offset1:73
	v_xor_b32_e32 v3, 0x7fffffff, v13
	s_waitcnt lgkmcnt(1)
	v_lshl_add_u64 v[12:13], v[38:39], 2, s[58:59]
	v_add_u32_e32 v36, 0x3800, v0
	v_mov_b32_e32 v37, v1
	v_lshl_add_u64 v[12:13], v[12:13], 0, v[36:37]
	global_store_dword v[12:13], v3, off
	s_waitcnt lgkmcnt(0)
	v_lshrrev_b32_e32 v3, s68, v14
	v_and_b32_e32 v3, s14, v3
	v_lshlrev_b32_e32 v57, 3, v3
	ds_read2st64_b32 v[12:13], v6 offset0:81 offset1:89
	ds_read_b64 v[38:39], v57
	v_lshrrev_b32_e32 v3, s68, v15
	v_and_b32_e32 v3, s14, v3
	v_lshlrev_b32_e32 v58, 3, v3
	s_waitcnt lgkmcnt(1)
	v_lshrrev_b32_e32 v3, s68, v12
	v_and_b32_e32 v3, s14, v3
	v_lshlrev_b32_e32 v59, 3, v3
	v_lshrrev_b32_e32 v3, s68, v13
	v_and_b32_e32 v3, s14, v3
	v_lshlrev_b32_e32 v60, 3, v3
	ds_read_b64 v[42:43], v58
	ds_read_b64 v[44:45], v59
	;; [unrolled: 1-line block ×3, first 2 shown]
	s_waitcnt lgkmcnt(3)
	v_lshl_add_u64 v[38:39], v[38:39], 2, s[58:59]
	v_mov_b32_e32 v49, v1
	v_xor_b32_e32 v5, 0x7fffffff, v14
	v_lshl_add_u64 v[38:39], v[38:39], 0, v[48:49]
	global_store_dword v[38:39], v5, off
	v_xor_b32_e32 v3, 0x7fffffff, v15
	s_waitcnt lgkmcnt(2)
	v_lshl_add_u64 v[14:15], v[42:43], 2, s[58:59]
	v_add_u32_e32 v38, 0x4800, v0
	v_mov_b32_e32 v39, v1
	v_lshl_add_u64 v[14:15], v[14:15], 0, v[38:39]
	global_store_dword v[14:15], v3, off
	s_waitcnt lgkmcnt(1)
	v_lshl_add_u64 v[14:15], v[44:45], 2, s[58:59]
	v_or_b32_e32 v42, 0x5000, v0
	v_mov_b32_e32 v43, v1
	v_lshl_add_u64 v[14:15], v[14:15], 0, v[42:43]
	v_xor_b32_e32 v3, 0x7fffffff, v12
	global_store_dword v[14:15], v3, off
	v_xor_b32_e32 v3, 0x7fffffff, v13
	s_waitcnt lgkmcnt(0)
	v_lshl_add_u64 v[12:13], v[46:47], 2, s[58:59]
	v_add_u32_e32 v14, 0x5800, v0
	v_mov_b32_e32 v15, v1
	v_lshl_add_u64 v[12:13], v[12:13], 0, v[14:15]
	global_store_dword v[12:13], v3, off
	v_mov_b32_e32 v3, v1
	v_lshl_add_u64 v[2:3], s[0:1], 0, v[2:3]
	v_mov_b32_e32 v5, v1
	v_lshl_add_u64 v[2:3], v[2:3], 0, v[4:5]
	global_load_dword v4, v[2:3], off
	global_load_dword v5, v[2:3], off offset:256
	global_load_dword v12, v[2:3], off offset:512
	;; [unrolled: 1-line block ×11, first 2 shown]
	s_barrier
	s_add_i32 s3, s3, -1
	s_cmp_eq_u32 s2, s3
	s_cselect_b64 s[0:1], -1, 0
	s_xor_b64 s[2:3], vcc, -1
	s_and_b64 s[0:1], s[2:3], s[0:1]
	s_waitcnt vmcnt(11)
	ds_write_b32 v11, v4 offset:256
	s_waitcnt vmcnt(10)
	ds_write_b32 v19, v5 offset:256
	;; [unrolled: 2-line block ×12, first 2 shown]
	s_waitcnt lgkmcnt(0)
	s_barrier
	ds_read_b64 v[2:3], v29
	ds_read2st64_b32 v[4:5], v6 offset0:1 offset1:9
	ds_read_b64 v[12:13], v50
	ds_read_b64 v[18:19], v51
	;; [unrolled: 1-line block ×3, first 2 shown]
	s_waitcnt lgkmcnt(4)
	v_lshl_add_u64 v[2:3], v[2:3], 2, s[62:63]
	v_lshl_add_u64 v[2:3], v[2:3], 0, v[0:1]
	s_waitcnt lgkmcnt(3)
	global_store_dword v[2:3], v4, off
	s_waitcnt lgkmcnt(2)
	v_lshl_add_u64 v[2:3], v[12:13], 2, s[62:63]
	ds_read2st64_b32 v[12:13], v6 offset0:17 offset1:25
	v_lshl_add_u64 v[2:3], v[2:3], 0, v[0:1]
	global_store_dword v[2:3], v5, off offset:2048
	s_waitcnt lgkmcnt(2)
	v_lshl_add_u64 v[2:3], v[18:19], 2, s[62:63]
	v_lshl_add_u64 v[2:3], v[2:3], 0, v[16:17]
	s_waitcnt lgkmcnt(0)
	global_store_dword v[2:3], v12, off
	v_lshl_add_u64 v[2:3], v[20:21], 2, s[62:63]
	v_lshl_add_u64 v[2:3], v[2:3], 0, v[30:31]
	global_store_dword v[2:3], v13, off
	ds_read_b64 v[2:3], v53
	ds_read2st64_b32 v[4:5], v6 offset0:33 offset1:41
	ds_read_b64 v[12:13], v54
	ds_read_b64 v[16:17], v55
	;; [unrolled: 1-line block ×3, first 2 shown]
	s_waitcnt lgkmcnt(4)
	v_lshl_add_u64 v[2:3], v[2:3], 2, s[62:63]
	v_lshl_add_u64 v[2:3], v[2:3], 0, v[40:41]
	s_waitcnt lgkmcnt(3)
	global_store_dword v[2:3], v4, off
	s_waitcnt lgkmcnt(2)
	v_lshl_add_u64 v[2:3], v[12:13], 2, s[62:63]
	ds_read2st64_b32 v[12:13], v6 offset0:49 offset1:57
	v_lshl_add_u64 v[2:3], v[2:3], 0, v[32:33]
	global_store_dword v[2:3], v5, off
	s_waitcnt lgkmcnt(2)
	v_lshl_add_u64 v[2:3], v[16:17], 2, s[62:63]
	v_lshl_add_u64 v[2:3], v[2:3], 0, v[34:35]
	s_waitcnt lgkmcnt(0)
	global_store_dword v[2:3], v12, off
	v_lshl_add_u64 v[2:3], v[18:19], 2, s[62:63]
	v_lshl_add_u64 v[2:3], v[2:3], 0, v[36:37]
	global_store_dword v[2:3], v13, off
	ds_read_b64 v[2:3], v57
	ds_read2st64_b32 v[4:5], v6 offset0:65 offset1:73
	ds_read_b64 v[12:13], v58
	ds_read_b64 v[16:17], v59
	;; [unrolled: 1-line block ×3, first 2 shown]
	s_waitcnt lgkmcnt(4)
	v_lshl_add_u64 v[2:3], v[2:3], 2, s[62:63]
	v_lshl_add_u64 v[2:3], v[2:3], 0, v[48:49]
	s_waitcnt lgkmcnt(3)
	global_store_dword v[2:3], v4, off
	s_waitcnt lgkmcnt(2)
	v_lshl_add_u64 v[2:3], v[12:13], 2, s[62:63]
	ds_read2st64_b32 v[12:13], v6 offset0:81 offset1:89
	v_lshl_add_u64 v[2:3], v[2:3], 0, v[38:39]
	global_store_dword v[2:3], v5, off
	s_waitcnt lgkmcnt(2)
	v_lshl_add_u64 v[2:3], v[16:17], 2, s[62:63]
	v_lshl_add_u64 v[2:3], v[2:3], 0, v[42:43]
	s_waitcnt lgkmcnt(0)
	global_store_dword v[2:3], v12, off
	v_lshl_add_u64 v[2:3], v[18:19], 2, s[62:63]
	v_lshl_add_u64 v[2:3], v[2:3], 0, v[14:15]
	global_store_dword v[2:3], v13, off
	s_and_saveexec_b64 s[2:3], s[0:1]
	s_cbranch_execz .LBB14_215
; %bb.214:
	ds_read_b64 v[2:3], v7
	v_mov_b32_e32 v11, v1
	v_lshl_add_u64 v[0:1], v[8:9], 0, v[10:11]
	s_waitcnt lgkmcnt(0)
	v_lshl_add_u64 v[0:1], v[0:1], 0, v[2:3]
	global_store_dwordx2 v7, v[0:1], s[66:67]
.LBB14_215:
	s_endpgm
	.section	.rodata,"a",@progbits
	.p2align	6, 0x0
	.amdhsa_kernel _ZN7rocprim17ROCPRIM_304000_NS6detail25onesweep_iteration_kernelINS1_34wrapped_radix_sort_onesweep_configINS0_14default_configEiN2at4cuda3cub6detail10OpaqueTypeILi4EEEEELb1EPKiPiPKSA_PSA_mNS0_19identity_decomposerEEEvT1_T2_T3_T4_jPT5_SO_PNS1_23onesweep_lookback_stateET6_jjj
		.amdhsa_group_segment_fixed_size 24832
		.amdhsa_private_segment_fixed_size 0
		.amdhsa_kernarg_size 336
		.amdhsa_user_sgpr_count 2
		.amdhsa_user_sgpr_dispatch_ptr 0
		.amdhsa_user_sgpr_queue_ptr 0
		.amdhsa_user_sgpr_kernarg_segment_ptr 1
		.amdhsa_user_sgpr_dispatch_id 0
		.amdhsa_user_sgpr_kernarg_preload_length 0
		.amdhsa_user_sgpr_kernarg_preload_offset 0
		.amdhsa_user_sgpr_private_segment_size 0
		.amdhsa_uses_dynamic_stack 0
		.amdhsa_enable_private_segment 0
		.amdhsa_system_sgpr_workgroup_id_x 1
		.amdhsa_system_sgpr_workgroup_id_y 0
		.amdhsa_system_sgpr_workgroup_id_z 0
		.amdhsa_system_sgpr_workgroup_info 0
		.amdhsa_system_vgpr_workitem_id 2
		.amdhsa_next_free_vgpr 65
		.amdhsa_next_free_sgpr 76
		.amdhsa_accum_offset 68
		.amdhsa_reserve_vcc 1
		.amdhsa_float_round_mode_32 0
		.amdhsa_float_round_mode_16_64 0
		.amdhsa_float_denorm_mode_32 3
		.amdhsa_float_denorm_mode_16_64 3
		.amdhsa_dx10_clamp 1
		.amdhsa_ieee_mode 1
		.amdhsa_fp16_overflow 0
		.amdhsa_tg_split 0
		.amdhsa_exception_fp_ieee_invalid_op 0
		.amdhsa_exception_fp_denorm_src 0
		.amdhsa_exception_fp_ieee_div_zero 0
		.amdhsa_exception_fp_ieee_overflow 0
		.amdhsa_exception_fp_ieee_underflow 0
		.amdhsa_exception_fp_ieee_inexact 0
		.amdhsa_exception_int_div_zero 0
	.end_amdhsa_kernel
	.section	.text._ZN7rocprim17ROCPRIM_304000_NS6detail25onesweep_iteration_kernelINS1_34wrapped_radix_sort_onesweep_configINS0_14default_configEiN2at4cuda3cub6detail10OpaqueTypeILi4EEEEELb1EPKiPiPKSA_PSA_mNS0_19identity_decomposerEEEvT1_T2_T3_T4_jPT5_SO_PNS1_23onesweep_lookback_stateET6_jjj,"axG",@progbits,_ZN7rocprim17ROCPRIM_304000_NS6detail25onesweep_iteration_kernelINS1_34wrapped_radix_sort_onesweep_configINS0_14default_configEiN2at4cuda3cub6detail10OpaqueTypeILi4EEEEELb1EPKiPiPKSA_PSA_mNS0_19identity_decomposerEEEvT1_T2_T3_T4_jPT5_SO_PNS1_23onesweep_lookback_stateET6_jjj,comdat
.Lfunc_end14:
	.size	_ZN7rocprim17ROCPRIM_304000_NS6detail25onesweep_iteration_kernelINS1_34wrapped_radix_sort_onesweep_configINS0_14default_configEiN2at4cuda3cub6detail10OpaqueTypeILi4EEEEELb1EPKiPiPKSA_PSA_mNS0_19identity_decomposerEEEvT1_T2_T3_T4_jPT5_SO_PNS1_23onesweep_lookback_stateET6_jjj, .Lfunc_end14-_ZN7rocprim17ROCPRIM_304000_NS6detail25onesweep_iteration_kernelINS1_34wrapped_radix_sort_onesweep_configINS0_14default_configEiN2at4cuda3cub6detail10OpaqueTypeILi4EEEEELb1EPKiPiPKSA_PSA_mNS0_19identity_decomposerEEEvT1_T2_T3_T4_jPT5_SO_PNS1_23onesweep_lookback_stateET6_jjj
                                        ; -- End function
	.set _ZN7rocprim17ROCPRIM_304000_NS6detail25onesweep_iteration_kernelINS1_34wrapped_radix_sort_onesweep_configINS0_14default_configEiN2at4cuda3cub6detail10OpaqueTypeILi4EEEEELb1EPKiPiPKSA_PSA_mNS0_19identity_decomposerEEEvT1_T2_T3_T4_jPT5_SO_PNS1_23onesweep_lookback_stateET6_jjj.num_vgpr, 65
	.set _ZN7rocprim17ROCPRIM_304000_NS6detail25onesweep_iteration_kernelINS1_34wrapped_radix_sort_onesweep_configINS0_14default_configEiN2at4cuda3cub6detail10OpaqueTypeILi4EEEEELb1EPKiPiPKSA_PSA_mNS0_19identity_decomposerEEEvT1_T2_T3_T4_jPT5_SO_PNS1_23onesweep_lookback_stateET6_jjj.num_agpr, 0
	.set _ZN7rocprim17ROCPRIM_304000_NS6detail25onesweep_iteration_kernelINS1_34wrapped_radix_sort_onesweep_configINS0_14default_configEiN2at4cuda3cub6detail10OpaqueTypeILi4EEEEELb1EPKiPiPKSA_PSA_mNS0_19identity_decomposerEEEvT1_T2_T3_T4_jPT5_SO_PNS1_23onesweep_lookback_stateET6_jjj.numbered_sgpr, 76
	.set _ZN7rocprim17ROCPRIM_304000_NS6detail25onesweep_iteration_kernelINS1_34wrapped_radix_sort_onesweep_configINS0_14default_configEiN2at4cuda3cub6detail10OpaqueTypeILi4EEEEELb1EPKiPiPKSA_PSA_mNS0_19identity_decomposerEEEvT1_T2_T3_T4_jPT5_SO_PNS1_23onesweep_lookback_stateET6_jjj.num_named_barrier, 0
	.set _ZN7rocprim17ROCPRIM_304000_NS6detail25onesweep_iteration_kernelINS1_34wrapped_radix_sort_onesweep_configINS0_14default_configEiN2at4cuda3cub6detail10OpaqueTypeILi4EEEEELb1EPKiPiPKSA_PSA_mNS0_19identity_decomposerEEEvT1_T2_T3_T4_jPT5_SO_PNS1_23onesweep_lookback_stateET6_jjj.private_seg_size, 0
	.set _ZN7rocprim17ROCPRIM_304000_NS6detail25onesweep_iteration_kernelINS1_34wrapped_radix_sort_onesweep_configINS0_14default_configEiN2at4cuda3cub6detail10OpaqueTypeILi4EEEEELb1EPKiPiPKSA_PSA_mNS0_19identity_decomposerEEEvT1_T2_T3_T4_jPT5_SO_PNS1_23onesweep_lookback_stateET6_jjj.uses_vcc, 1
	.set _ZN7rocprim17ROCPRIM_304000_NS6detail25onesweep_iteration_kernelINS1_34wrapped_radix_sort_onesweep_configINS0_14default_configEiN2at4cuda3cub6detail10OpaqueTypeILi4EEEEELb1EPKiPiPKSA_PSA_mNS0_19identity_decomposerEEEvT1_T2_T3_T4_jPT5_SO_PNS1_23onesweep_lookback_stateET6_jjj.uses_flat_scratch, 0
	.set _ZN7rocprim17ROCPRIM_304000_NS6detail25onesweep_iteration_kernelINS1_34wrapped_radix_sort_onesweep_configINS0_14default_configEiN2at4cuda3cub6detail10OpaqueTypeILi4EEEEELb1EPKiPiPKSA_PSA_mNS0_19identity_decomposerEEEvT1_T2_T3_T4_jPT5_SO_PNS1_23onesweep_lookback_stateET6_jjj.has_dyn_sized_stack, 0
	.set _ZN7rocprim17ROCPRIM_304000_NS6detail25onesweep_iteration_kernelINS1_34wrapped_radix_sort_onesweep_configINS0_14default_configEiN2at4cuda3cub6detail10OpaqueTypeILi4EEEEELb1EPKiPiPKSA_PSA_mNS0_19identity_decomposerEEEvT1_T2_T3_T4_jPT5_SO_PNS1_23onesweep_lookback_stateET6_jjj.has_recursion, 0
	.set _ZN7rocprim17ROCPRIM_304000_NS6detail25onesweep_iteration_kernelINS1_34wrapped_radix_sort_onesweep_configINS0_14default_configEiN2at4cuda3cub6detail10OpaqueTypeILi4EEEEELb1EPKiPiPKSA_PSA_mNS0_19identity_decomposerEEEvT1_T2_T3_T4_jPT5_SO_PNS1_23onesweep_lookback_stateET6_jjj.has_indirect_call, 0
	.section	.AMDGPU.csdata,"",@progbits
; Kernel info:
; codeLenInByte = 16176
; TotalNumSgprs: 82
; NumVgprs: 65
; NumAgprs: 0
; TotalNumVgprs: 65
; ScratchSize: 0
; MemoryBound: 0
; FloatMode: 240
; IeeeMode: 1
; LDSByteSize: 24832 bytes/workgroup (compile time only)
; SGPRBlocks: 10
; VGPRBlocks: 8
; NumSGPRsForWavesPerEU: 82
; NumVGPRsForWavesPerEU: 65
; AccumOffset: 68
; Occupancy: 7
; WaveLimiterHint : 1
; COMPUTE_PGM_RSRC2:SCRATCH_EN: 0
; COMPUTE_PGM_RSRC2:USER_SGPR: 2
; COMPUTE_PGM_RSRC2:TRAP_HANDLER: 0
; COMPUTE_PGM_RSRC2:TGID_X_EN: 1
; COMPUTE_PGM_RSRC2:TGID_Y_EN: 0
; COMPUTE_PGM_RSRC2:TGID_Z_EN: 0
; COMPUTE_PGM_RSRC2:TIDIG_COMP_CNT: 2
; COMPUTE_PGM_RSRC3_GFX90A:ACCUM_OFFSET: 16
; COMPUTE_PGM_RSRC3_GFX90A:TG_SPLIT: 0
	.section	.text._ZN7rocprim17ROCPRIM_304000_NS6detail25onesweep_iteration_kernelINS1_34wrapped_radix_sort_onesweep_configINS0_14default_configEiN2at4cuda3cub6detail10OpaqueTypeILi4EEEEELb1EPiSC_PSA_SD_mNS0_19identity_decomposerEEEvT1_T2_T3_T4_jPT5_SK_PNS1_23onesweep_lookback_stateET6_jjj,"axG",@progbits,_ZN7rocprim17ROCPRIM_304000_NS6detail25onesweep_iteration_kernelINS1_34wrapped_radix_sort_onesweep_configINS0_14default_configEiN2at4cuda3cub6detail10OpaqueTypeILi4EEEEELb1EPiSC_PSA_SD_mNS0_19identity_decomposerEEEvT1_T2_T3_T4_jPT5_SK_PNS1_23onesweep_lookback_stateET6_jjj,comdat
	.protected	_ZN7rocprim17ROCPRIM_304000_NS6detail25onesweep_iteration_kernelINS1_34wrapped_radix_sort_onesweep_configINS0_14default_configEiN2at4cuda3cub6detail10OpaqueTypeILi4EEEEELb1EPiSC_PSA_SD_mNS0_19identity_decomposerEEEvT1_T2_T3_T4_jPT5_SK_PNS1_23onesweep_lookback_stateET6_jjj ; -- Begin function _ZN7rocprim17ROCPRIM_304000_NS6detail25onesweep_iteration_kernelINS1_34wrapped_radix_sort_onesweep_configINS0_14default_configEiN2at4cuda3cub6detail10OpaqueTypeILi4EEEEELb1EPiSC_PSA_SD_mNS0_19identity_decomposerEEEvT1_T2_T3_T4_jPT5_SK_PNS1_23onesweep_lookback_stateET6_jjj
	.globl	_ZN7rocprim17ROCPRIM_304000_NS6detail25onesweep_iteration_kernelINS1_34wrapped_radix_sort_onesweep_configINS0_14default_configEiN2at4cuda3cub6detail10OpaqueTypeILi4EEEEELb1EPiSC_PSA_SD_mNS0_19identity_decomposerEEEvT1_T2_T3_T4_jPT5_SK_PNS1_23onesweep_lookback_stateET6_jjj
	.p2align	8
	.type	_ZN7rocprim17ROCPRIM_304000_NS6detail25onesweep_iteration_kernelINS1_34wrapped_radix_sort_onesweep_configINS0_14default_configEiN2at4cuda3cub6detail10OpaqueTypeILi4EEEEELb1EPiSC_PSA_SD_mNS0_19identity_decomposerEEEvT1_T2_T3_T4_jPT5_SK_PNS1_23onesweep_lookback_stateET6_jjj,@function
_ZN7rocprim17ROCPRIM_304000_NS6detail25onesweep_iteration_kernelINS1_34wrapped_radix_sort_onesweep_configINS0_14default_configEiN2at4cuda3cub6detail10OpaqueTypeILi4EEEEELb1EPiSC_PSA_SD_mNS0_19identity_decomposerEEEvT1_T2_T3_T4_jPT5_SK_PNS1_23onesweep_lookback_stateET6_jjj: ; @_ZN7rocprim17ROCPRIM_304000_NS6detail25onesweep_iteration_kernelINS1_34wrapped_radix_sort_onesweep_configINS0_14default_configEiN2at4cuda3cub6detail10OpaqueTypeILi4EEEEELb1EPiSC_PSA_SD_mNS0_19identity_decomposerEEEvT1_T2_T3_T4_jPT5_SK_PNS1_23onesweep_lookback_stateET6_jjj
; %bb.0:
	s_load_dwordx4 s[68:71], s[0:1], 0x44
	s_load_dwordx8 s[56:63], s[0:1], 0x0
	s_load_dwordx4 s[64:67], s[0:1], 0x28
	s_load_dwordx2 s[54:55], s[0:1], 0x38
	s_mov_b64 s[4:5], -1
	s_waitcnt lgkmcnt(0)
	s_cmp_ge_u32 s2, s70
	s_mul_i32 s72, s2, 0x1800
	v_mbcnt_lo_u32_b32 v1, -1, 0
	s_cbranch_scc0 .LBB15_168
; %bb.1:
	s_load_dword s3, s[0:1], 0x20
	s_mul_i32 s4, s70, 0xffffe800
	s_mov_b32 s73, 0
	s_lshl_b64 s[70:71], s[72:73], 2
	v_mbcnt_hi_u32_b32 v15, -1, v1
	s_waitcnt lgkmcnt(0)
	s_add_i32 s73, s4, s3
	s_add_u32 s4, s56, s70
	v_and_b32_e32 v24, 0x1c0, v0
	s_addc_u32 s5, s57, s71
	v_mul_u32_u24_e32 v8, 12, v24
	v_mov_b32_e32 v5, 0
	v_lshlrev_b32_e32 v4, 2, v15
	v_lshl_add_u64 v[2:3], s[4:5], 0, v[4:5]
	v_lshlrev_b32_e32 v6, 2, v8
	v_mov_b32_e32 v7, v5
	v_or_b32_e32 v10, v15, v8
	v_mov_b32_e32 v9, -1
	v_lshl_add_u64 v[2:3], v[2:3], 0, v[6:7]
	v_cmp_gt_u32_e32 vcc, s73, v10
	v_mov_b32_e32 v5, -1
	s_and_saveexec_b64 s[4:5], vcc
	s_cbranch_execz .LBB15_3
; %bb.2:
	global_load_dword v5, v[2:3], off
	s_waitcnt vmcnt(0)
	v_xor_b32_e32 v5, 0x7fffffff, v5
.LBB15_3:
	s_or_b64 exec, exec, s[4:5]
	v_add_u32_e32 v7, 64, v10
	v_cmp_gt_u32_e64 s[52:53], s73, v7
	s_and_saveexec_b64 s[4:5], s[52:53]
	s_cbranch_execz .LBB15_5
; %bb.4:
	global_load_dword v7, v[2:3], off offset:256
	s_waitcnt vmcnt(0)
	v_xor_b32_e32 v9, 0x7fffffff, v7
.LBB15_5:
	s_or_b64 exec, exec, s[4:5]
	v_add_u32_e32 v7, 0x80, v10
	v_cmp_gt_u32_e64 s[4:5], s73, v7
	v_mov_b32_e32 v7, -1
	v_mov_b32_e32 v14, -1
	s_and_saveexec_b64 s[6:7], s[4:5]
	s_cbranch_execz .LBB15_7
; %bb.6:
	global_load_dword v8, v[2:3], off offset:512
	s_waitcnt vmcnt(0)
	v_xor_b32_e32 v14, 0x7fffffff, v8
.LBB15_7:
	s_or_b64 exec, exec, s[6:7]
	v_add_u32_e32 v8, 0xc0, v10
	v_cmp_gt_u32_e64 s[6:7], s73, v8
	s_and_saveexec_b64 s[8:9], s[6:7]
	s_cbranch_execz .LBB15_9
; %bb.8:
	global_load_dword v7, v[2:3], off offset:768
	s_waitcnt vmcnt(0)
	v_xor_b32_e32 v7, 0x7fffffff, v7
.LBB15_9:
	s_or_b64 exec, exec, s[8:9]
	v_add_u32_e32 v8, 0x100, v10
	v_cmp_gt_u32_e64 s[8:9], s73, v8
	v_mov_b32_e32 v16, -1
	v_mov_b32_e32 v17, -1
	s_and_saveexec_b64 s[10:11], s[8:9]
	s_cbranch_execz .LBB15_11
; %bb.10:
	global_load_dword v8, v[2:3], off offset:1024
	s_waitcnt vmcnt(0)
	v_xor_b32_e32 v17, 0x7fffffff, v8
.LBB15_11:
	;; [unrolled: 22-line block ×5, first 2 shown]
	s_or_b64 exec, exec, s[22:23]
	v_add_u32_e32 v10, 0x2c0, v10
	v_and_b32_e32 v8, 0x3ff, v0
	v_cmp_gt_u32_e64 s[22:23], s73, v10
	s_and_saveexec_b64 s[24:25], s[22:23]
	s_cbranch_execz .LBB15_25
; %bb.24:
	global_load_dword v2, v[2:3], off offset:2816
	s_waitcnt vmcnt(0)
	v_xor_b32_e32 v22, 0x7fffffff, v2
.LBB15_25:
	s_or_b64 exec, exec, s[24:25]
	s_load_dword s24, s[0:1], 0x5c
	s_load_dword s3, s[0:1], 0x50
	s_add_u32 s25, s0, 0x50
	s_addc_u32 s26, s1, 0
	v_mov_b32_e32 v11, 0
	s_waitcnt lgkmcnt(0)
	s_lshr_b32 s27, s24, 16
	s_cmp_lt_u32 s2, s3
	s_cselect_b32 s24, 12, 18
	s_add_u32 s24, s25, s24
	s_addc_u32 s25, s26, 0
	global_load_ushort v25, v11, s[24:25]
	v_bfe_u32 v3, v0, 10, 10
	v_bfe_u32 v10, v0, 20, 10
	v_lshrrev_b32_e32 v13, s68, v5
	s_lshl_b32 s24, -1, s69
	v_mad_u32_u24 v34, v10, s27, v3
	v_bitop3_b32 v3, v13, s24, v13 bitop3:0x30
	v_and_b32_e32 v10, 1, v3
	v_lshlrev_b32_e32 v13, 30, v3
	v_mov_b32_e32 v12, v11
	v_mov_b32_e32 v26, v11
	s_not_b32 s33, s24
	v_mul_lo_u32 v35, v3, 36
	v_lshlrev_b32_e32 v27, 29, v3
	v_lshlrev_b32_e32 v29, 28, v3
	;; [unrolled: 1-line block ×3, first 2 shown]
	v_lshl_add_u64 v[32:33], v[10:11], 0, -1
	v_cmp_ne_u32_e64 s[24:25], 0, v10
	v_not_b32_e32 v3, v13
	v_mov_b32_e32 v28, v11
	v_cmp_gt_i64_e64 s[26:27], 0, v[12:13]
	v_cmp_gt_i64_e64 s[28:29], 0, v[26:27]
	v_not_b32_e32 v10, v27
	v_xor_b32_e32 v27, s24, v32
	v_ashrrev_i32_e32 v3, 31, v3
	v_mov_b32_e32 v30, v11
	v_cmp_gt_i64_e64 s[30:31], 0, v[28:29]
	v_not_b32_e32 v12, v29
	v_not_b32_e32 v13, v31
	v_xor_b32_e32 v26, s25, v33
	v_ashrrev_i32_e32 v10, 31, v10
	v_and_b32_e32 v27, exec_lo, v27
	v_xor_b32_e32 v28, s27, v3
	v_xor_b32_e32 v3, s26, v3
	v_cmp_gt_i64_e64 s[34:35], 0, v[30:31]
	v_ashrrev_i32_e32 v12, 31, v12
	v_ashrrev_i32_e32 v13, 31, v13
	v_and_b32_e32 v26, exec_hi, v26
	v_xor_b32_e32 v29, s29, v10
	v_xor_b32_e32 v10, s28, v10
	v_and_b32_e32 v3, v27, v3
	v_xor_b32_e32 v30, s31, v12
	v_xor_b32_e32 v12, s30, v12
	;; [unrolled: 1-line block ×4, first 2 shown]
	v_and_b32_e32 v13, v26, v28
	v_and_b32_e32 v3, v3, v10
	;; [unrolled: 1-line block ×7, first 2 shown]
	v_mbcnt_lo_u32_b32 v3, v12, 0
	v_mbcnt_hi_u32_b32 v3, v13, v3
	v_cmp_ne_u64_e64 s[24:25], 0, v[12:13]
	v_cmp_eq_u32_e64 s[26:27], 0, v3
	v_lshlrev_b32_e32 v2, 2, v8
	s_and_b64 s[26:27], s[24:25], s[26:27]
	ds_write_b32 v2, v11 offset:32
	s_waitcnt lgkmcnt(0)
	s_barrier
	s_waitcnt vmcnt(0)
	; wave barrier
	v_mad_u64_u32 v[26:27], s[28:29], v34, v25, v[8:9]
	v_lshrrev_b32_e32 v34, 6, v26
	v_lshl_add_u32 v26, v34, 2, v35
	s_and_saveexec_b64 s[24:25], s[26:27]
; %bb.26:
	v_bcnt_u32_b32 v10, v12, 0
	v_bcnt_u32_b32 v10, v13, v10
	ds_write_b32 v26, v10 offset:32
; %bb.27:
	s_or_b64 exec, exec, s[24:25]
	v_lshrrev_b32_e32 v10, s68, v9
	v_and_b32_e32 v27, s33, v10
	v_mul_lo_u32 v10, v27, 36
	v_lshl_add_u32 v28, v34, 2, v10
	v_and_b32_e32 v10, 1, v27
	v_lshl_add_u64 v[12:13], v[10:11], 0, -1
	v_cmp_ne_u32_e64 s[24:25], 0, v10
	; wave barrier
	s_nop 1
	v_xor_b32_e32 v12, s24, v12
	v_xor_b32_e32 v10, s25, v13
	v_and_b32_e32 v29, exec_lo, v12
	v_lshlrev_b32_e32 v13, 30, v27
	v_mov_b32_e32 v12, v11
	v_cmp_gt_i64_e64 s[24:25], 0, v[12:13]
	v_not_b32_e32 v12, v13
	v_ashrrev_i32_e32 v12, 31, v12
	v_and_b32_e32 v10, exec_hi, v10
	v_xor_b32_e32 v13, s25, v12
	v_xor_b32_e32 v12, s24, v12
	v_and_b32_e32 v10, v10, v13
	v_and_b32_e32 v29, v29, v12
	v_lshlrev_b32_e32 v13, 29, v27
	v_mov_b32_e32 v12, v11
	v_cmp_gt_i64_e64 s[24:25], 0, v[12:13]
	v_not_b32_e32 v12, v13
	v_ashrrev_i32_e32 v12, 31, v12
	v_xor_b32_e32 v13, s25, v12
	v_xor_b32_e32 v12, s24, v12
	v_and_b32_e32 v10, v10, v13
	v_and_b32_e32 v29, v29, v12
	v_lshlrev_b32_e32 v13, 28, v27
	v_mov_b32_e32 v12, v11
	v_cmp_gt_i64_e64 s[24:25], 0, v[12:13]
	v_not_b32_e32 v12, v13
	v_ashrrev_i32_e32 v12, 31, v12
	v_xor_b32_e32 v13, s25, v12
	v_xor_b32_e32 v12, s24, v12
	v_and_b32_e32 v10, v10, v13
	v_lshlrev_b32_e32 v13, 27, v27
	v_and_b32_e32 v29, v29, v12
	v_mov_b32_e32 v12, v11
	v_not_b32_e32 v11, v13
	v_cmp_gt_i64_e64 s[24:25], 0, v[12:13]
	v_ashrrev_i32_e32 v11, 31, v11
	ds_read_b32 v25, v28 offset:32
	v_xor_b32_e32 v12, s25, v11
	v_xor_b32_e32 v13, s24, v11
	v_and_b32_e32 v11, v10, v12
	v_and_b32_e32 v10, v29, v13
	v_mbcnt_lo_u32_b32 v12, v10, 0
	v_mbcnt_hi_u32_b32 v27, v11, v12
	v_cmp_eq_u32_e64 s[24:25], 0, v27
	v_cmp_ne_u64_e64 s[26:27], 0, v[10:11]
	s_and_b64 s[26:27], s[26:27], s[24:25]
	; wave barrier
	s_and_saveexec_b64 s[24:25], s[26:27]
	s_cbranch_execz .LBB15_29
; %bb.28:
	v_bcnt_u32_b32 v10, v10, 0
	v_bcnt_u32_b32 v10, v11, v10
	s_waitcnt lgkmcnt(0)
	v_add_u32_e32 v10, v25, v10
	ds_write_b32 v28, v10 offset:32
.LBB15_29:
	s_or_b64 exec, exec, s[24:25]
	v_lshrrev_b32_e32 v10, s68, v14
	v_and_b32_e32 v30, s33, v10
	v_mul_lo_u32 v10, v30, 36
	v_lshl_add_u32 v31, v34, 2, v10
	v_and_b32_e32 v10, 1, v30
	v_mov_b32_e32 v11, 0
	v_lshl_add_u64 v[12:13], v[10:11], 0, -1
	v_cmp_ne_u32_e64 s[24:25], 0, v10
	; wave barrier
	s_nop 1
	v_xor_b32_e32 v12, s24, v12
	v_xor_b32_e32 v10, s25, v13
	v_and_b32_e32 v32, exec_lo, v12
	v_lshlrev_b32_e32 v13, 30, v30
	v_mov_b32_e32 v12, v11
	v_cmp_gt_i64_e64 s[24:25], 0, v[12:13]
	v_not_b32_e32 v12, v13
	v_ashrrev_i32_e32 v12, 31, v12
	v_and_b32_e32 v10, exec_hi, v10
	v_xor_b32_e32 v13, s25, v12
	v_xor_b32_e32 v12, s24, v12
	v_and_b32_e32 v10, v10, v13
	v_and_b32_e32 v32, v32, v12
	v_lshlrev_b32_e32 v13, 29, v30
	v_mov_b32_e32 v12, v11
	v_cmp_gt_i64_e64 s[24:25], 0, v[12:13]
	v_not_b32_e32 v12, v13
	v_ashrrev_i32_e32 v12, 31, v12
	v_xor_b32_e32 v13, s25, v12
	v_xor_b32_e32 v12, s24, v12
	v_and_b32_e32 v10, v10, v13
	v_and_b32_e32 v32, v32, v12
	v_lshlrev_b32_e32 v13, 28, v30
	v_mov_b32_e32 v12, v11
	v_cmp_gt_i64_e64 s[24:25], 0, v[12:13]
	v_not_b32_e32 v12, v13
	v_ashrrev_i32_e32 v12, 31, v12
	;; [unrolled: 9-line block ×3, first 2 shown]
	v_xor_b32_e32 v13, s25, v12
	v_xor_b32_e32 v12, s24, v12
	ds_read_b32 v29, v31 offset:32
	v_and_b32_e32 v12, v32, v12
	v_and_b32_e32 v13, v10, v13
	v_mbcnt_lo_u32_b32 v10, v12, 0
	v_mbcnt_hi_u32_b32 v30, v13, v10
	v_cmp_eq_u32_e64 s[24:25], 0, v30
	v_cmp_ne_u64_e64 s[26:27], 0, v[12:13]
	s_and_b64 s[26:27], s[26:27], s[24:25]
	; wave barrier
	s_and_saveexec_b64 s[24:25], s[26:27]
	s_cbranch_execz .LBB15_31
; %bb.30:
	v_bcnt_u32_b32 v10, v12, 0
	v_bcnt_u32_b32 v10, v13, v10
	s_waitcnt lgkmcnt(0)
	v_add_u32_e32 v10, v29, v10
	ds_write_b32 v31, v10 offset:32
.LBB15_31:
	s_or_b64 exec, exec, s[24:25]
	v_lshrrev_b32_e32 v10, s68, v7
	v_and_b32_e32 v33, s33, v10
	v_mul_lo_u32 v10, v33, 36
	v_lshl_add_u32 v35, v34, 2, v10
	v_and_b32_e32 v10, 1, v33
	v_lshl_add_u64 v[12:13], v[10:11], 0, -1
	v_cmp_ne_u32_e64 s[24:25], 0, v10
	; wave barrier
	s_nop 1
	v_xor_b32_e32 v12, s24, v12
	v_xor_b32_e32 v10, s25, v13
	v_and_b32_e32 v36, exec_lo, v12
	v_lshlrev_b32_e32 v13, 30, v33
	v_mov_b32_e32 v12, v11
	v_cmp_gt_i64_e64 s[24:25], 0, v[12:13]
	v_not_b32_e32 v12, v13
	v_ashrrev_i32_e32 v12, 31, v12
	v_and_b32_e32 v10, exec_hi, v10
	v_xor_b32_e32 v13, s25, v12
	v_xor_b32_e32 v12, s24, v12
	v_and_b32_e32 v10, v10, v13
	v_and_b32_e32 v36, v36, v12
	v_lshlrev_b32_e32 v13, 29, v33
	v_mov_b32_e32 v12, v11
	v_cmp_gt_i64_e64 s[24:25], 0, v[12:13]
	v_not_b32_e32 v12, v13
	v_ashrrev_i32_e32 v12, 31, v12
	v_xor_b32_e32 v13, s25, v12
	v_xor_b32_e32 v12, s24, v12
	v_and_b32_e32 v10, v10, v13
	v_and_b32_e32 v36, v36, v12
	v_lshlrev_b32_e32 v13, 28, v33
	v_mov_b32_e32 v12, v11
	v_cmp_gt_i64_e64 s[24:25], 0, v[12:13]
	v_not_b32_e32 v12, v13
	v_ashrrev_i32_e32 v12, 31, v12
	v_xor_b32_e32 v13, s25, v12
	v_xor_b32_e32 v12, s24, v12
	v_and_b32_e32 v10, v10, v13
	v_lshlrev_b32_e32 v13, 27, v33
	v_and_b32_e32 v36, v36, v12
	v_mov_b32_e32 v12, v11
	v_not_b32_e32 v11, v13
	v_cmp_gt_i64_e64 s[24:25], 0, v[12:13]
	v_ashrrev_i32_e32 v11, 31, v11
	ds_read_b32 v32, v35 offset:32
	v_xor_b32_e32 v12, s25, v11
	v_xor_b32_e32 v13, s24, v11
	v_and_b32_e32 v11, v10, v12
	v_and_b32_e32 v10, v36, v13
	v_mbcnt_lo_u32_b32 v12, v10, 0
	v_mbcnt_hi_u32_b32 v33, v11, v12
	v_cmp_eq_u32_e64 s[24:25], 0, v33
	v_cmp_ne_u64_e64 s[26:27], 0, v[10:11]
	s_and_b64 s[26:27], s[26:27], s[24:25]
	; wave barrier
	s_and_saveexec_b64 s[24:25], s[26:27]
	s_cbranch_execz .LBB15_33
; %bb.32:
	v_bcnt_u32_b32 v10, v10, 0
	v_bcnt_u32_b32 v10, v11, v10
	s_waitcnt lgkmcnt(0)
	v_add_u32_e32 v10, v32, v10
	ds_write_b32 v35, v10 offset:32
.LBB15_33:
	s_or_b64 exec, exec, s[24:25]
	v_lshrrev_b32_e32 v10, s68, v17
	v_and_b32_e32 v37, s33, v10
	v_mul_lo_u32 v10, v37, 36
	v_lshl_add_u32 v39, v34, 2, v10
	v_and_b32_e32 v10, 1, v37
	v_mov_b32_e32 v11, 0
	v_lshl_add_u64 v[12:13], v[10:11], 0, -1
	v_cmp_ne_u32_e64 s[24:25], 0, v10
	; wave barrier
	s_nop 1
	v_xor_b32_e32 v12, s24, v12
	v_xor_b32_e32 v10, s25, v13
	v_and_b32_e32 v38, exec_lo, v12
	v_lshlrev_b32_e32 v13, 30, v37
	v_mov_b32_e32 v12, v11
	v_cmp_gt_i64_e64 s[24:25], 0, v[12:13]
	v_not_b32_e32 v12, v13
	v_ashrrev_i32_e32 v12, 31, v12
	v_and_b32_e32 v10, exec_hi, v10
	v_xor_b32_e32 v13, s25, v12
	v_xor_b32_e32 v12, s24, v12
	v_and_b32_e32 v10, v10, v13
	v_and_b32_e32 v38, v38, v12
	v_lshlrev_b32_e32 v13, 29, v37
	v_mov_b32_e32 v12, v11
	v_cmp_gt_i64_e64 s[24:25], 0, v[12:13]
	v_not_b32_e32 v12, v13
	v_ashrrev_i32_e32 v12, 31, v12
	v_xor_b32_e32 v13, s25, v12
	v_xor_b32_e32 v12, s24, v12
	v_and_b32_e32 v10, v10, v13
	v_and_b32_e32 v38, v38, v12
	v_lshlrev_b32_e32 v13, 28, v37
	v_mov_b32_e32 v12, v11
	v_cmp_gt_i64_e64 s[24:25], 0, v[12:13]
	v_not_b32_e32 v12, v13
	v_ashrrev_i32_e32 v12, 31, v12
	;; [unrolled: 9-line block ×3, first 2 shown]
	v_xor_b32_e32 v13, s25, v12
	v_xor_b32_e32 v12, s24, v12
	ds_read_b32 v36, v39 offset:32
	v_and_b32_e32 v12, v38, v12
	v_and_b32_e32 v13, v10, v13
	v_mbcnt_lo_u32_b32 v10, v12, 0
	v_mbcnt_hi_u32_b32 v37, v13, v10
	v_cmp_eq_u32_e64 s[24:25], 0, v37
	v_cmp_ne_u64_e64 s[26:27], 0, v[12:13]
	s_and_b64 s[26:27], s[26:27], s[24:25]
	; wave barrier
	s_and_saveexec_b64 s[24:25], s[26:27]
	s_cbranch_execz .LBB15_35
; %bb.34:
	v_bcnt_u32_b32 v10, v12, 0
	v_bcnt_u32_b32 v10, v13, v10
	s_waitcnt lgkmcnt(0)
	v_add_u32_e32 v10, v36, v10
	ds_write_b32 v39, v10 offset:32
.LBB15_35:
	s_or_b64 exec, exec, s[24:25]
	v_lshrrev_b32_e32 v10, s68, v16
	v_and_b32_e32 v40, s33, v10
	v_mul_lo_u32 v10, v40, 36
	v_lshl_add_u32 v42, v34, 2, v10
	v_and_b32_e32 v10, 1, v40
	v_lshl_add_u64 v[12:13], v[10:11], 0, -1
	v_cmp_ne_u32_e64 s[24:25], 0, v10
	; wave barrier
	s_nop 1
	v_xor_b32_e32 v12, s24, v12
	v_xor_b32_e32 v10, s25, v13
	v_and_b32_e32 v41, exec_lo, v12
	v_lshlrev_b32_e32 v13, 30, v40
	v_mov_b32_e32 v12, v11
	v_cmp_gt_i64_e64 s[24:25], 0, v[12:13]
	v_not_b32_e32 v12, v13
	v_ashrrev_i32_e32 v12, 31, v12
	v_and_b32_e32 v10, exec_hi, v10
	v_xor_b32_e32 v13, s25, v12
	v_xor_b32_e32 v12, s24, v12
	v_and_b32_e32 v10, v10, v13
	v_and_b32_e32 v41, v41, v12
	v_lshlrev_b32_e32 v13, 29, v40
	v_mov_b32_e32 v12, v11
	v_cmp_gt_i64_e64 s[24:25], 0, v[12:13]
	v_not_b32_e32 v12, v13
	v_ashrrev_i32_e32 v12, 31, v12
	v_xor_b32_e32 v13, s25, v12
	v_xor_b32_e32 v12, s24, v12
	v_and_b32_e32 v10, v10, v13
	v_and_b32_e32 v41, v41, v12
	v_lshlrev_b32_e32 v13, 28, v40
	v_mov_b32_e32 v12, v11
	v_cmp_gt_i64_e64 s[24:25], 0, v[12:13]
	v_not_b32_e32 v12, v13
	v_ashrrev_i32_e32 v12, 31, v12
	v_xor_b32_e32 v13, s25, v12
	v_xor_b32_e32 v12, s24, v12
	v_and_b32_e32 v10, v10, v13
	v_lshlrev_b32_e32 v13, 27, v40
	v_and_b32_e32 v41, v41, v12
	v_mov_b32_e32 v12, v11
	v_not_b32_e32 v11, v13
	v_cmp_gt_i64_e64 s[24:25], 0, v[12:13]
	v_ashrrev_i32_e32 v11, 31, v11
	ds_read_b32 v38, v42 offset:32
	v_xor_b32_e32 v12, s25, v11
	v_xor_b32_e32 v13, s24, v11
	v_and_b32_e32 v11, v10, v12
	v_and_b32_e32 v10, v41, v13
	v_mbcnt_lo_u32_b32 v12, v10, 0
	v_mbcnt_hi_u32_b32 v40, v11, v12
	v_cmp_eq_u32_e64 s[24:25], 0, v40
	v_cmp_ne_u64_e64 s[26:27], 0, v[10:11]
	s_and_b64 s[26:27], s[26:27], s[24:25]
	; wave barrier
	s_and_saveexec_b64 s[24:25], s[26:27]
	s_cbranch_execz .LBB15_37
; %bb.36:
	v_bcnt_u32_b32 v10, v10, 0
	v_bcnt_u32_b32 v10, v11, v10
	s_waitcnt lgkmcnt(0)
	v_add_u32_e32 v10, v38, v10
	ds_write_b32 v42, v10 offset:32
.LBB15_37:
	s_or_b64 exec, exec, s[24:25]
	v_lshrrev_b32_e32 v10, s68, v19
	v_and_b32_e32 v43, s33, v10
	v_mul_lo_u32 v10, v43, 36
	v_lshl_add_u32 v45, v34, 2, v10
	v_and_b32_e32 v10, 1, v43
	v_mov_b32_e32 v11, 0
	v_lshl_add_u64 v[12:13], v[10:11], 0, -1
	v_cmp_ne_u32_e64 s[24:25], 0, v10
	; wave barrier
	s_nop 1
	v_xor_b32_e32 v12, s24, v12
	v_xor_b32_e32 v10, s25, v13
	v_and_b32_e32 v44, exec_lo, v12
	v_lshlrev_b32_e32 v13, 30, v43
	v_mov_b32_e32 v12, v11
	v_cmp_gt_i64_e64 s[24:25], 0, v[12:13]
	v_not_b32_e32 v12, v13
	v_ashrrev_i32_e32 v12, 31, v12
	v_and_b32_e32 v10, exec_hi, v10
	v_xor_b32_e32 v13, s25, v12
	v_xor_b32_e32 v12, s24, v12
	v_and_b32_e32 v10, v10, v13
	v_and_b32_e32 v44, v44, v12
	v_lshlrev_b32_e32 v13, 29, v43
	v_mov_b32_e32 v12, v11
	v_cmp_gt_i64_e64 s[24:25], 0, v[12:13]
	v_not_b32_e32 v12, v13
	v_ashrrev_i32_e32 v12, 31, v12
	v_xor_b32_e32 v13, s25, v12
	v_xor_b32_e32 v12, s24, v12
	v_and_b32_e32 v10, v10, v13
	v_and_b32_e32 v44, v44, v12
	v_lshlrev_b32_e32 v13, 28, v43
	v_mov_b32_e32 v12, v11
	v_cmp_gt_i64_e64 s[24:25], 0, v[12:13]
	v_not_b32_e32 v12, v13
	v_ashrrev_i32_e32 v12, 31, v12
	;; [unrolled: 9-line block ×3, first 2 shown]
	v_xor_b32_e32 v13, s25, v12
	v_xor_b32_e32 v12, s24, v12
	ds_read_b32 v41, v45 offset:32
	v_and_b32_e32 v12, v44, v12
	v_and_b32_e32 v13, v10, v13
	v_mbcnt_lo_u32_b32 v10, v12, 0
	v_mbcnt_hi_u32_b32 v43, v13, v10
	v_cmp_eq_u32_e64 s[24:25], 0, v43
	v_cmp_ne_u64_e64 s[26:27], 0, v[12:13]
	s_and_b64 s[26:27], s[26:27], s[24:25]
	; wave barrier
	s_and_saveexec_b64 s[24:25], s[26:27]
	s_cbranch_execz .LBB15_39
; %bb.38:
	v_bcnt_u32_b32 v10, v12, 0
	v_bcnt_u32_b32 v10, v13, v10
	s_waitcnt lgkmcnt(0)
	v_add_u32_e32 v10, v41, v10
	ds_write_b32 v45, v10 offset:32
.LBB15_39:
	s_or_b64 exec, exec, s[24:25]
	v_lshrrev_b32_e32 v10, s68, v18
	v_and_b32_e32 v46, s33, v10
	v_mul_lo_u32 v10, v46, 36
	v_lshl_add_u32 v48, v34, 2, v10
	v_and_b32_e32 v10, 1, v46
	v_lshl_add_u64 v[12:13], v[10:11], 0, -1
	v_cmp_ne_u32_e64 s[24:25], 0, v10
	; wave barrier
	s_nop 1
	v_xor_b32_e32 v12, s24, v12
	v_xor_b32_e32 v10, s25, v13
	v_and_b32_e32 v47, exec_lo, v12
	v_lshlrev_b32_e32 v13, 30, v46
	v_mov_b32_e32 v12, v11
	v_cmp_gt_i64_e64 s[24:25], 0, v[12:13]
	v_not_b32_e32 v12, v13
	v_ashrrev_i32_e32 v12, 31, v12
	v_and_b32_e32 v10, exec_hi, v10
	v_xor_b32_e32 v13, s25, v12
	v_xor_b32_e32 v12, s24, v12
	v_and_b32_e32 v10, v10, v13
	v_and_b32_e32 v47, v47, v12
	v_lshlrev_b32_e32 v13, 29, v46
	v_mov_b32_e32 v12, v11
	v_cmp_gt_i64_e64 s[24:25], 0, v[12:13]
	v_not_b32_e32 v12, v13
	v_ashrrev_i32_e32 v12, 31, v12
	v_xor_b32_e32 v13, s25, v12
	v_xor_b32_e32 v12, s24, v12
	v_and_b32_e32 v10, v10, v13
	v_and_b32_e32 v47, v47, v12
	v_lshlrev_b32_e32 v13, 28, v46
	v_mov_b32_e32 v12, v11
	v_cmp_gt_i64_e64 s[24:25], 0, v[12:13]
	v_not_b32_e32 v12, v13
	v_ashrrev_i32_e32 v12, 31, v12
	v_xor_b32_e32 v13, s25, v12
	v_xor_b32_e32 v12, s24, v12
	v_and_b32_e32 v10, v10, v13
	v_lshlrev_b32_e32 v13, 27, v46
	v_and_b32_e32 v47, v47, v12
	v_mov_b32_e32 v12, v11
	v_not_b32_e32 v11, v13
	v_cmp_gt_i64_e64 s[24:25], 0, v[12:13]
	v_ashrrev_i32_e32 v11, 31, v11
	ds_read_b32 v44, v48 offset:32
	v_xor_b32_e32 v12, s25, v11
	v_xor_b32_e32 v13, s24, v11
	v_and_b32_e32 v11, v10, v12
	v_and_b32_e32 v10, v47, v13
	v_mbcnt_lo_u32_b32 v12, v10, 0
	v_mbcnt_hi_u32_b32 v46, v11, v12
	v_cmp_eq_u32_e64 s[24:25], 0, v46
	v_cmp_ne_u64_e64 s[26:27], 0, v[10:11]
	s_and_b64 s[26:27], s[26:27], s[24:25]
	; wave barrier
	s_and_saveexec_b64 s[24:25], s[26:27]
	s_cbranch_execz .LBB15_41
; %bb.40:
	v_bcnt_u32_b32 v10, v10, 0
	v_bcnt_u32_b32 v10, v11, v10
	s_waitcnt lgkmcnt(0)
	v_add_u32_e32 v10, v44, v10
	ds_write_b32 v48, v10 offset:32
.LBB15_41:
	s_or_b64 exec, exec, s[24:25]
	v_lshrrev_b32_e32 v10, s68, v21
	v_and_b32_e32 v49, s33, v10
	v_mul_lo_u32 v10, v49, 36
	v_lshl_add_u32 v51, v34, 2, v10
	v_and_b32_e32 v10, 1, v49
	v_mov_b32_e32 v11, 0
	v_lshl_add_u64 v[12:13], v[10:11], 0, -1
	v_cmp_ne_u32_e64 s[24:25], 0, v10
	; wave barrier
	s_nop 1
	v_xor_b32_e32 v12, s24, v12
	v_xor_b32_e32 v10, s25, v13
	v_and_b32_e32 v50, exec_lo, v12
	v_lshlrev_b32_e32 v13, 30, v49
	v_mov_b32_e32 v12, v11
	v_cmp_gt_i64_e64 s[24:25], 0, v[12:13]
	v_not_b32_e32 v12, v13
	v_ashrrev_i32_e32 v12, 31, v12
	v_and_b32_e32 v10, exec_hi, v10
	v_xor_b32_e32 v13, s25, v12
	v_xor_b32_e32 v12, s24, v12
	v_and_b32_e32 v10, v10, v13
	v_and_b32_e32 v50, v50, v12
	v_lshlrev_b32_e32 v13, 29, v49
	v_mov_b32_e32 v12, v11
	v_cmp_gt_i64_e64 s[24:25], 0, v[12:13]
	v_not_b32_e32 v12, v13
	v_ashrrev_i32_e32 v12, 31, v12
	v_xor_b32_e32 v13, s25, v12
	v_xor_b32_e32 v12, s24, v12
	v_and_b32_e32 v10, v10, v13
	v_and_b32_e32 v50, v50, v12
	v_lshlrev_b32_e32 v13, 28, v49
	v_mov_b32_e32 v12, v11
	v_cmp_gt_i64_e64 s[24:25], 0, v[12:13]
	v_not_b32_e32 v12, v13
	v_ashrrev_i32_e32 v12, 31, v12
	v_xor_b32_e32 v13, s25, v12
	v_xor_b32_e32 v12, s24, v12
	v_and_b32_e32 v10, v10, v13
	v_and_b32_e32 v50, v50, v12
	v_lshlrev_b32_e32 v13, 27, v49
	v_mov_b32_e32 v12, v11
	v_cmp_gt_i64_e64 s[24:25], 0, v[12:13]
	v_not_b32_e32 v12, v13
	v_ashrrev_i32_e32 v12, 31, v12
	v_xor_b32_e32 v13, s25, v12
	v_xor_b32_e32 v12, s24, v12
	ds_read_b32 v47, v51 offset:32
	v_and_b32_e32 v12, v50, v12
	v_and_b32_e32 v13, v10, v13
	v_mbcnt_lo_u32_b32 v10, v12, 0
	v_mbcnt_hi_u32_b32 v49, v13, v10
	v_cmp_eq_u32_e64 s[24:25], 0, v49
	v_cmp_ne_u64_e64 s[26:27], 0, v[12:13]
	s_and_b64 s[26:27], s[26:27], s[24:25]
	; wave barrier
	s_and_saveexec_b64 s[24:25], s[26:27]
	s_cbranch_execz .LBB15_43
; %bb.42:
	v_bcnt_u32_b32 v10, v12, 0
	v_bcnt_u32_b32 v10, v13, v10
	s_waitcnt lgkmcnt(0)
	v_add_u32_e32 v10, v47, v10
	ds_write_b32 v51, v10 offset:32
.LBB15_43:
	s_or_b64 exec, exec, s[24:25]
	v_lshrrev_b32_e32 v10, s68, v20
	v_and_b32_e32 v52, s33, v10
	v_mul_lo_u32 v10, v52, 36
	v_lshl_add_u32 v54, v34, 2, v10
	v_and_b32_e32 v10, 1, v52
	v_lshl_add_u64 v[12:13], v[10:11], 0, -1
	v_cmp_ne_u32_e64 s[24:25], 0, v10
	; wave barrier
	s_nop 1
	v_xor_b32_e32 v12, s24, v12
	v_xor_b32_e32 v10, s25, v13
	v_and_b32_e32 v53, exec_lo, v12
	v_lshlrev_b32_e32 v13, 30, v52
	v_mov_b32_e32 v12, v11
	v_cmp_gt_i64_e64 s[24:25], 0, v[12:13]
	v_not_b32_e32 v12, v13
	v_ashrrev_i32_e32 v12, 31, v12
	v_and_b32_e32 v10, exec_hi, v10
	v_xor_b32_e32 v13, s25, v12
	v_xor_b32_e32 v12, s24, v12
	v_and_b32_e32 v10, v10, v13
	v_and_b32_e32 v53, v53, v12
	v_lshlrev_b32_e32 v13, 29, v52
	v_mov_b32_e32 v12, v11
	v_cmp_gt_i64_e64 s[24:25], 0, v[12:13]
	v_not_b32_e32 v12, v13
	v_ashrrev_i32_e32 v12, 31, v12
	v_xor_b32_e32 v13, s25, v12
	v_xor_b32_e32 v12, s24, v12
	v_and_b32_e32 v10, v10, v13
	v_and_b32_e32 v53, v53, v12
	v_lshlrev_b32_e32 v13, 28, v52
	v_mov_b32_e32 v12, v11
	v_cmp_gt_i64_e64 s[24:25], 0, v[12:13]
	v_not_b32_e32 v12, v13
	v_ashrrev_i32_e32 v12, 31, v12
	v_xor_b32_e32 v13, s25, v12
	v_xor_b32_e32 v12, s24, v12
	v_and_b32_e32 v10, v10, v13
	v_lshlrev_b32_e32 v13, 27, v52
	v_and_b32_e32 v53, v53, v12
	v_mov_b32_e32 v12, v11
	v_not_b32_e32 v11, v13
	v_cmp_gt_i64_e64 s[24:25], 0, v[12:13]
	v_ashrrev_i32_e32 v11, 31, v11
	ds_read_b32 v50, v54 offset:32
	v_xor_b32_e32 v12, s25, v11
	v_xor_b32_e32 v13, s24, v11
	v_and_b32_e32 v11, v10, v12
	v_and_b32_e32 v10, v53, v13
	v_mbcnt_lo_u32_b32 v12, v10, 0
	v_mbcnt_hi_u32_b32 v52, v11, v12
	v_cmp_eq_u32_e64 s[24:25], 0, v52
	v_cmp_ne_u64_e64 s[26:27], 0, v[10:11]
	s_and_b64 s[26:27], s[26:27], s[24:25]
	; wave barrier
	s_and_saveexec_b64 s[24:25], s[26:27]
	s_cbranch_execz .LBB15_45
; %bb.44:
	v_bcnt_u32_b32 v10, v10, 0
	v_bcnt_u32_b32 v10, v11, v10
	s_waitcnt lgkmcnt(0)
	v_add_u32_e32 v10, v50, v10
	ds_write_b32 v54, v10 offset:32
.LBB15_45:
	s_or_b64 exec, exec, s[24:25]
	v_lshrrev_b32_e32 v10, s68, v23
	v_and_b32_e32 v55, s33, v10
	v_mul_lo_u32 v10, v55, 36
	v_lshl_add_u32 v57, v34, 2, v10
	v_and_b32_e32 v10, 1, v55
	v_mov_b32_e32 v11, 0
	v_lshl_add_u64 v[12:13], v[10:11], 0, -1
	v_cmp_ne_u32_e64 s[24:25], 0, v10
	; wave barrier
	s_nop 1
	v_xor_b32_e32 v12, s24, v12
	v_xor_b32_e32 v10, s25, v13
	v_and_b32_e32 v56, exec_lo, v12
	v_lshlrev_b32_e32 v13, 30, v55
	v_mov_b32_e32 v12, v11
	v_cmp_gt_i64_e64 s[24:25], 0, v[12:13]
	v_not_b32_e32 v12, v13
	v_ashrrev_i32_e32 v12, 31, v12
	v_and_b32_e32 v10, exec_hi, v10
	v_xor_b32_e32 v13, s25, v12
	v_xor_b32_e32 v12, s24, v12
	v_and_b32_e32 v10, v10, v13
	v_and_b32_e32 v56, v56, v12
	v_lshlrev_b32_e32 v13, 29, v55
	v_mov_b32_e32 v12, v11
	v_cmp_gt_i64_e64 s[24:25], 0, v[12:13]
	v_not_b32_e32 v12, v13
	v_ashrrev_i32_e32 v12, 31, v12
	v_xor_b32_e32 v13, s25, v12
	v_xor_b32_e32 v12, s24, v12
	v_and_b32_e32 v10, v10, v13
	v_and_b32_e32 v56, v56, v12
	v_lshlrev_b32_e32 v13, 28, v55
	v_mov_b32_e32 v12, v11
	v_cmp_gt_i64_e64 s[24:25], 0, v[12:13]
	v_not_b32_e32 v12, v13
	v_ashrrev_i32_e32 v12, 31, v12
	;; [unrolled: 9-line block ×3, first 2 shown]
	v_xor_b32_e32 v13, s25, v12
	v_xor_b32_e32 v12, s24, v12
	ds_read_b32 v53, v57 offset:32
	v_and_b32_e32 v12, v56, v12
	v_and_b32_e32 v13, v10, v13
	v_mbcnt_lo_u32_b32 v10, v12, 0
	v_mbcnt_hi_u32_b32 v55, v13, v10
	v_cmp_eq_u32_e64 s[24:25], 0, v55
	v_cmp_ne_u64_e64 s[26:27], 0, v[12:13]
	s_and_b64 s[26:27], s[26:27], s[24:25]
	; wave barrier
	s_and_saveexec_b64 s[24:25], s[26:27]
	s_cbranch_execz .LBB15_47
; %bb.46:
	v_bcnt_u32_b32 v10, v12, 0
	v_bcnt_u32_b32 v10, v13, v10
	s_waitcnt lgkmcnt(0)
	v_add_u32_e32 v10, v53, v10
	ds_write_b32 v57, v10 offset:32
.LBB15_47:
	s_or_b64 exec, exec, s[24:25]
	v_lshrrev_b32_e32 v10, s68, v22
	v_and_b32_e32 v13, s33, v10
	v_mul_lo_u32 v10, v13, 36
	v_lshl_add_u32 v12, v34, 2, v10
	v_and_b32_e32 v10, 1, v13
	v_lshl_add_u64 v[58:59], v[10:11], 0, -1
	v_cmp_ne_u32_e64 s[24:25], 0, v10
	; wave barrier
	s_nop 1
	v_xor_b32_e32 v10, s25, v59
	v_xor_b32_e32 v34, s24, v58
	v_lshlrev_b32_e32 v59, 30, v13
	v_mov_b32_e32 v58, v11
	v_cmp_gt_i64_e64 s[24:25], 0, v[58:59]
	v_not_b32_e32 v58, v59
	v_ashrrev_i32_e32 v58, 31, v58
	v_and_b32_e32 v10, exec_hi, v10
	v_and_b32_e32 v34, exec_lo, v34
	v_xor_b32_e32 v59, s25, v58
	v_xor_b32_e32 v58, s24, v58
	v_and_b32_e32 v10, v10, v59
	v_and_b32_e32 v34, v34, v58
	v_lshlrev_b32_e32 v59, 29, v13
	v_mov_b32_e32 v58, v11
	v_cmp_gt_i64_e64 s[24:25], 0, v[58:59]
	v_not_b32_e32 v58, v59
	v_ashrrev_i32_e32 v58, 31, v58
	v_xor_b32_e32 v59, s25, v58
	v_xor_b32_e32 v58, s24, v58
	v_and_b32_e32 v10, v10, v59
	v_and_b32_e32 v34, v34, v58
	v_lshlrev_b32_e32 v59, 28, v13
	v_mov_b32_e32 v58, v11
	v_cmp_gt_i64_e64 s[24:25], 0, v[58:59]
	v_not_b32_e32 v58, v59
	v_ashrrev_i32_e32 v58, 31, v58
	v_xor_b32_e32 v59, s25, v58
	v_xor_b32_e32 v58, s24, v58
	v_and_b32_e32 v10, v10, v59
	v_lshlrev_b32_e32 v59, 27, v13
	v_and_b32_e32 v34, v34, v58
	v_mov_b32_e32 v58, v11
	v_not_b32_e32 v11, v59
	v_cmp_gt_i64_e64 s[24:25], 0, v[58:59]
	v_ashrrev_i32_e32 v11, 31, v11
	ds_read_b32 v56, v12 offset:32
	v_xor_b32_e32 v13, s25, v11
	v_xor_b32_e32 v58, s24, v11
	v_and_b32_e32 v11, v10, v13
	v_and_b32_e32 v10, v34, v58
	v_mbcnt_lo_u32_b32 v13, v10, 0
	v_mbcnt_hi_u32_b32 v58, v11, v13
	v_cmp_eq_u32_e64 s[24:25], 0, v58
	v_cmp_ne_u64_e64 s[26:27], 0, v[10:11]
	s_and_b64 s[26:27], s[26:27], s[24:25]
	; wave barrier
	s_and_saveexec_b64 s[24:25], s[26:27]
	s_cbranch_execz .LBB15_49
; %bb.48:
	v_bcnt_u32_b32 v10, v10, 0
	v_bcnt_u32_b32 v10, v11, v10
	s_waitcnt lgkmcnt(0)
	v_add_u32_e32 v10, v56, v10
	ds_write_b32 v12, v10 offset:32
.LBB15_49:
	s_or_b64 exec, exec, s[24:25]
	; wave barrier
	s_waitcnt lgkmcnt(0)
	s_barrier
	ds_read_b32 v10, v2 offset:32
	v_and_b32_e32 v11, 15, v15
	v_cmp_ne_u32_e64 s[24:25], 0, v11
	s_waitcnt lgkmcnt(0)
	v_mov_b32_dpp v13, v10 row_shr:1 row_mask:0xf bank_mask:0xf
	v_cndmask_b32_e64 v13, 0, v13, s[24:25]
	v_add_u32_e32 v10, v13, v10
	v_cmp_lt_u32_e64 s[24:25], 1, v11
	s_nop 0
	v_mov_b32_dpp v13, v10 row_shr:2 row_mask:0xf bank_mask:0xf
	v_cndmask_b32_e64 v13, 0, v13, s[24:25]
	v_add_u32_e32 v10, v10, v13
	v_cmp_lt_u32_e64 s[24:25], 3, v11
	s_nop 0
	;; [unrolled: 5-line block ×3, first 2 shown]
	v_mov_b32_dpp v13, v10 row_shr:8 row_mask:0xf bank_mask:0xf
	v_cndmask_b32_e64 v11, 0, v13, s[24:25]
	v_add_u32_e32 v10, v10, v11
	v_bfe_i32 v13, v15, 4, 1
	v_cmp_lt_u32_e64 s[24:25], 31, v15
	v_mov_b32_dpp v11, v10 row_bcast:15 row_mask:0xf bank_mask:0xf
	v_and_b32_e32 v11, v13, v11
	v_add_u32_e32 v10, v10, v11
	v_min_u32_e32 v13, 0x1c0, v24
	v_or_b32_e32 v13, 63, v13
	v_mov_b32_dpp v11, v10 row_bcast:31 row_mask:0xf bank_mask:0xf
	v_cndmask_b32_e64 v11, 0, v11, s[24:25]
	v_add_u32_e32 v10, v10, v11
	v_lshrrev_b32_e32 v11, 6, v8
	v_cmp_eq_u32_e64 s[24:25], v8, v13
	s_and_saveexec_b64 s[26:27], s[24:25]
; %bb.50:
	v_lshlrev_b32_e32 v13, 2, v11
	ds_write_b32 v13, v10
; %bb.51:
	s_or_b64 exec, exec, s[26:27]
	v_cmp_gt_u32_e64 s[24:25], 8, v8
	s_waitcnt lgkmcnt(0)
	s_barrier
	s_and_saveexec_b64 s[26:27], s[24:25]
	s_cbranch_execz .LBB15_53
; %bb.52:
	ds_read_b32 v13, v2
	v_and_b32_e32 v24, 7, v15
	v_cmp_ne_u32_e64 s[24:25], 0, v24
	s_waitcnt lgkmcnt(0)
	v_mov_b32_dpp v34, v13 row_shr:1 row_mask:0xf bank_mask:0xf
	v_cndmask_b32_e64 v34, 0, v34, s[24:25]
	v_add_u32_e32 v13, v34, v13
	v_cmp_lt_u32_e64 s[24:25], 1, v24
	s_nop 0
	v_mov_b32_dpp v34, v13 row_shr:2 row_mask:0xf bank_mask:0xf
	v_cndmask_b32_e64 v34, 0, v34, s[24:25]
	v_add_u32_e32 v13, v13, v34
	v_cmp_lt_u32_e64 s[24:25], 3, v24
	s_nop 0
	v_mov_b32_dpp v34, v13 row_shr:4 row_mask:0xf bank_mask:0xf
	v_cndmask_b32_e64 v24, 0, v34, s[24:25]
	v_add_u32_e32 v13, v13, v24
	ds_write_b32 v2, v13
.LBB15_53:
	s_or_b64 exec, exec, s[26:27]
	v_cmp_lt_u32_e64 s[24:25], 63, v8
	v_mov_b32_e32 v13, 0
	s_waitcnt lgkmcnt(0)
	s_barrier
	s_and_saveexec_b64 s[26:27], s[24:25]
; %bb.54:
	v_lshl_add_u32 v11, v11, 2, -4
	ds_read_b32 v13, v11
; %bb.55:
	s_or_b64 exec, exec, s[26:27]
	v_add_u32_e32 v11, -1, v15
	v_and_b32_e32 v24, 64, v15
	v_cmp_lt_i32_e64 s[24:25], v11, v24
	s_waitcnt lgkmcnt(0)
	v_add_u32_e32 v10, v13, v10
	v_cmp_gt_u32_e64 s[26:27], 32, v8
	v_cndmask_b32_e64 v11, v11, v15, s[24:25]
	v_lshlrev_b32_e32 v11, 2, v11
	ds_bpermute_b32 v10, v11, v10
	v_cmp_eq_u32_e64 s[24:25], 0, v15
	s_waitcnt lgkmcnt(0)
	s_nop 0
	v_cndmask_b32_e64 v10, v10, v13, s[24:25]
	ds_write_b32 v2, v10 offset:32
	s_waitcnt lgkmcnt(0)
	s_barrier
	ds_read_b32 v13, v26 offset:32
	ds_read_b32 v34, v28 offset:32
	;; [unrolled: 1-line block ×12, first 2 shown]
	v_cmp_lt_u32_e64 s[24:25], 31, v8
	v_mov_b64_e32 v[10:11], 0
                                        ; implicit-def: $vgpr12
	s_and_saveexec_b64 s[30:31], s[26:27]
	s_cbranch_execz .LBB15_59
; %bb.56:
	v_mul_u32_u24_e32 v10, 36, v8
	ds_read_b32 v10, v10 offset:32
	v_add_u32_e32 v12, 1, v8
	v_cmp_ne_u32_e64 s[28:29], 32, v12
	v_mov_b32_e32 v11, 0x1800
	s_and_saveexec_b64 s[34:35], s[28:29]
; %bb.57:
	v_mul_u32_u24_e32 v11, 36, v12
	ds_read_b32 v11, v11 offset:32
; %bb.58:
	s_or_b64 exec, exec, s[34:35]
	s_waitcnt lgkmcnt(0)
	v_sub_u32_e32 v12, v11, v10
	v_mov_b32_e32 v11, 0
.LBB15_59:
	s_or_b64 exec, exec, s[30:31]
	v_lshlrev_b32_e32 v3, 2, v3
	s_waitcnt lgkmcnt(11)
	v_lshl_add_u32 v13, v13, 2, v3
	s_waitcnt lgkmcnt(0)
	s_barrier
	ds_write_b32 v13, v5 offset:256
	v_lshlrev_b32_e32 v3, 2, v34
	v_lshlrev_b32_e32 v5, 2, v27
	;; [unrolled: 1-line block ×3, first 2 shown]
	v_add3_u32 v34, v3, v5, v25
	ds_write_b32 v34, v9 offset:256
	v_lshlrev_b32_e32 v3, 2, v62
	v_lshlrev_b32_e32 v5, 2, v30
	;; [unrolled: 1-line block ×3, first 2 shown]
	v_add3_u32 v35, v3, v5, v9
	v_lshlrev_b32_e32 v3, 2, v61
	v_lshlrev_b32_e32 v5, 2, v33
	;; [unrolled: 1-line block ×3, first 2 shown]
	v_add3_u32 v33, v3, v5, v9
	ds_write_b32 v35, v14 offset:256
	ds_write_b32 v33, v7 offset:256
	v_lshlrev_b32_e32 v3, 2, v60
	v_lshlrev_b32_e32 v5, 2, v37
	v_lshlrev_b32_e32 v7, 2, v36
	v_add3_u32 v36, v3, v5, v7
	v_lshlrev_b32_e32 v3, 2, v59
	v_lshlrev_b32_e32 v5, 2, v40
	v_lshlrev_b32_e32 v7, 2, v38
	v_add3_u32 v37, v3, v5, v7
	;; [unrolled: 4-line block ×7, first 2 shown]
	v_lshlrev_b32_e32 v3, 2, v24
	v_lshlrev_b32_e32 v5, 2, v58
	;; [unrolled: 1-line block ×3, first 2 shown]
	v_mov_b32_e32 v15, 0
	v_add3_u32 v43, v3, v5, v7
	v_lshlrev_b32_e32 v32, 3, v8
	ds_write_b32 v36, v17 offset:256
	ds_write_b32 v37, v16 offset:256
	;; [unrolled: 1-line block ×8, first 2 shown]
	s_waitcnt lgkmcnt(0)
	s_barrier
	s_and_saveexec_b64 s[28:29], s[26:27]
	s_cbranch_execz .LBB15_69
; %bb.60:
	v_lshl_add_u32 v14, s2, 5, v8
	v_lshl_add_u64 v[16:17], v[14:15], 2, s[54:55]
	v_or_b32_e32 v3, 2.0, v12
	global_store_dword v[16:17], v3, off sc1
	s_mov_b64 s[30:31], 0
	s_brev_b32 s38, -4
	s_mov_b32 s39, s2
	v_mov_b32_e32 v3, 0
                                        ; implicit-def: $sgpr26_sgpr27
	s_branch .LBB15_63
.LBB15_61:                              ;   in Loop: Header=BB15_63 Depth=1
	s_or_b64 exec, exec, s[36:37]
.LBB15_62:                              ;   in Loop: Header=BB15_63 Depth=1
	s_or_b64 exec, exec, s[34:35]
	v_and_b32_e32 v7, 0x3fffffff, v5
	v_add_u32_e32 v3, v7, v3
	v_cmp_gt_i32_e64 s[26:27], -2.0, v5
	s_and_b64 s[34:35], exec, s[26:27]
	s_or_b64 s[30:31], s[34:35], s[30:31]
	s_andn2_b64 exec, exec, s[30:31]
	s_cbranch_execz .LBB15_68
.LBB15_63:                              ; =>This Loop Header: Depth=1
                                        ;     Child Loop BB15_66 Depth 2
	s_or_b64 s[26:27], s[26:27], exec
	s_cmp_eq_u32 s39, 0
	s_cbranch_scc1 .LBB15_67
; %bb.64:                               ;   in Loop: Header=BB15_63 Depth=1
	s_add_i32 s39, s39, -1
	v_lshl_or_b32 v14, s39, 5, v8
	v_lshl_add_u64 v[18:19], v[14:15], 2, s[54:55]
	global_load_dword v5, v[18:19], off sc1
	s_waitcnt vmcnt(0)
	v_cmp_gt_u32_e64 s[26:27], 2.0, v5
	s_and_saveexec_b64 s[34:35], s[26:27]
	s_cbranch_execz .LBB15_62
; %bb.65:                               ;   in Loop: Header=BB15_63 Depth=1
	s_mov_b64 s[36:37], 0
.LBB15_66:                              ;   Parent Loop BB15_63 Depth=1
                                        ; =>  This Inner Loop Header: Depth=2
	global_load_dword v5, v[18:19], off sc1
	s_waitcnt vmcnt(0)
	v_cmp_lt_u32_e64 s[26:27], s38, v5
	s_or_b64 s[36:37], s[26:27], s[36:37]
	s_andn2_b64 exec, exec, s[36:37]
	s_cbranch_execnz .LBB15_66
	s_branch .LBB15_61
.LBB15_67:                              ;   in Loop: Header=BB15_63 Depth=1
                                        ; implicit-def: $sgpr39
	s_and_b64 s[34:35], exec, s[26:27]
	s_or_b64 s[30:31], s[34:35], s[30:31]
	s_andn2_b64 exec, exec, s[30:31]
	s_cbranch_execnz .LBB15_63
.LBB15_68:
	s_or_b64 exec, exec, s[30:31]
	v_add_u32_e32 v5, v3, v12
	v_or_b32_e32 v5, 0x80000000, v5
	global_store_dword v[16:17], v5, off sc1
	global_load_dwordx2 v[14:15], v32, s[64:65]
	v_sub_co_u32_e64 v16, s[26:27], v3, v10
	s_nop 1
	v_subb_co_u32_e64 v17, s[26:27], 0, v11, s[26:27]
	s_waitcnt vmcnt(0)
	v_lshl_add_u64 v[14:15], v[16:17], 0, v[14:15]
	ds_write_b64 v32, v[14:15]
.LBB15_69:
	s_or_b64 exec, exec, s[28:29]
	v_cmp_gt_u32_e64 s[26:27], s73, v8
	s_waitcnt lgkmcnt(0)
	s_barrier
	s_and_saveexec_b64 s[28:29], s[26:27]
	s_cbranch_execz .LBB15_71
; %bb.70:
	v_sub_u32_e32 v3, v32, v2
	ds_read_b32 v3, v3 offset:256
	s_waitcnt lgkmcnt(0)
	v_lshrrev_b32_e32 v5, s68, v3
	v_and_b32_e32 v5, s33, v5
	v_lshlrev_b32_e32 v5, 3, v5
	ds_read_b64 v[14:15], v5
	v_xor_b32_e32 v5, 0x7fffffff, v3
	v_mov_b32_e32 v3, 0
	s_waitcnt lgkmcnt(0)
	v_lshl_add_u64 v[14:15], v[14:15], 2, s[58:59]
	v_lshl_add_u64 v[14:15], v[14:15], 0, v[2:3]
	global_store_dword v[14:15], v5, off
.LBB15_71:
	s_or_b64 exec, exec, s[28:29]
	v_add_u32_e32 v3, 0x200, v8
	v_cmp_gt_u32_e64 s[28:29], s73, v3
	s_and_saveexec_b64 s[30:31], s[28:29]
	s_cbranch_execz .LBB15_73
; %bb.72:
	v_sub_u32_e32 v3, v32, v2
	ds_read_b32 v3, v3 offset:2304
	s_waitcnt lgkmcnt(0)
	v_lshrrev_b32_e32 v5, s68, v3
	v_and_b32_e32 v5, s33, v5
	v_lshlrev_b32_e32 v5, 3, v5
	ds_read_b64 v[14:15], v5
	v_xor_b32_e32 v5, 0x7fffffff, v3
	v_mov_b32_e32 v3, 0
	s_waitcnt lgkmcnt(0)
	v_lshl_add_u64 v[14:15], v[14:15], 2, s[58:59]
	v_lshl_add_u64 v[14:15], v[14:15], 0, v[2:3]
	global_store_dword v[14:15], v5, off offset:2048
.LBB15_73:
	s_or_b64 exec, exec, s[30:31]
	v_or_b32_e32 v3, 0x400, v8
	v_cmp_gt_u32_e64 s[30:31], s73, v3
	v_lshlrev_b32_e32 v14, 2, v3
	s_and_saveexec_b64 s[34:35], s[30:31]
	s_cbranch_execz .LBB15_75
; %bb.74:
	v_sub_u32_e32 v3, v32, v2
	ds_read_b32 v3, v3 offset:4352
	v_mov_b32_e32 v15, 0
	s_waitcnt lgkmcnt(0)
	v_lshrrev_b32_e32 v5, s68, v3
	v_and_b32_e32 v5, s33, v5
	v_lshlrev_b32_e32 v5, 3, v5
	ds_read_b64 v[16:17], v5
	v_xor_b32_e32 v3, 0x7fffffff, v3
	s_waitcnt lgkmcnt(0)
	v_lshl_add_u64 v[16:17], v[16:17], 2, s[58:59]
	v_lshl_add_u64 v[16:17], v[16:17], 0, v[14:15]
	global_store_dword v[16:17], v3, off
.LBB15_75:
	s_or_b64 exec, exec, s[34:35]
	v_add_u32_e32 v3, 0x600, v8
	v_cmp_gt_u32_e64 s[34:35], s73, v3
	v_lshlrev_b32_e32 v16, 2, v3
	s_and_saveexec_b64 s[36:37], s[34:35]
	s_cbranch_execz .LBB15_77
; %bb.76:
	v_sub_u32_e32 v3, v32, v2
	ds_read_b32 v3, v3 offset:6400
	v_mov_b32_e32 v17, 0
	s_waitcnt lgkmcnt(0)
	v_lshrrev_b32_e32 v5, s68, v3
	v_and_b32_e32 v5, s33, v5
	v_lshlrev_b32_e32 v5, 3, v5
	ds_read_b64 v[18:19], v5
	v_xor_b32_e32 v3, 0x7fffffff, v3
	s_waitcnt lgkmcnt(0)
	v_lshl_add_u64 v[18:19], v[18:19], 2, s[58:59]
	v_lshl_add_u64 v[18:19], v[18:19], 0, v[16:17]
	global_store_dword v[18:19], v3, off
.LBB15_77:
	s_or_b64 exec, exec, s[36:37]
	v_or_b32_e32 v3, 0x800, v8
	v_cmp_gt_u32_e64 s[36:37], s73, v3
	v_lshlrev_b32_e32 v18, 2, v3
	s_and_saveexec_b64 s[38:39], s[36:37]
	s_cbranch_execz .LBB15_79
; %bb.78:
	v_sub_u32_e32 v3, v32, v2
	ds_read_b32 v3, v3 offset:8448
	v_mov_b32_e32 v19, 0
	s_waitcnt lgkmcnt(0)
	v_lshrrev_b32_e32 v5, s68, v3
	v_and_b32_e32 v5, s33, v5
	v_lshlrev_b32_e32 v5, 3, v5
	ds_read_b64 v[20:21], v5
	v_xor_b32_e32 v3, 0x7fffffff, v3
	s_waitcnt lgkmcnt(0)
	v_lshl_add_u64 v[20:21], v[20:21], 2, s[58:59]
	v_lshl_add_u64 v[20:21], v[20:21], 0, v[18:19]
	global_store_dword v[20:21], v3, off
.LBB15_79:
	s_or_b64 exec, exec, s[38:39]
	v_add_u32_e32 v3, 0xa00, v8
	v_cmp_gt_u32_e64 s[38:39], s73, v3
	v_lshlrev_b32_e32 v20, 2, v3
	s_and_saveexec_b64 s[40:41], s[38:39]
	s_cbranch_execz .LBB15_81
; %bb.80:
	v_sub_u32_e32 v3, v32, v2
	ds_read_b32 v3, v3 offset:10496
	v_mov_b32_e32 v21, 0
	s_waitcnt lgkmcnt(0)
	v_lshrrev_b32_e32 v5, s68, v3
	v_and_b32_e32 v5, s33, v5
	v_lshlrev_b32_e32 v5, 3, v5
	ds_read_b64 v[22:23], v5
	v_xor_b32_e32 v3, 0x7fffffff, v3
	s_waitcnt lgkmcnt(0)
	v_lshl_add_u64 v[22:23], v[22:23], 2, s[58:59]
	v_lshl_add_u64 v[22:23], v[22:23], 0, v[20:21]
	global_store_dword v[22:23], v3, off
.LBB15_81:
	;; [unrolled: 42-line block ×3, first 2 shown]
	s_or_b64 exec, exec, s[44:45]
	v_or_b32_e32 v3, 0x1000, v8
	v_cmp_gt_u32_e64 s[44:45], s73, v3
	v_lshlrev_b32_e32 v26, 2, v3
	s_and_saveexec_b64 s[46:47], s[44:45]
	s_cbranch_execz .LBB15_87
; %bb.86:
	v_sub_u32_e32 v3, v32, v2
	ds_read_b32 v3, v3 offset:16640
	v_mov_b32_e32 v27, 0
	s_waitcnt lgkmcnt(0)
	v_lshrrev_b32_e32 v5, s68, v3
	v_and_b32_e32 v5, s33, v5
	v_lshlrev_b32_e32 v5, 3, v5
	ds_read_b64 v[28:29], v5
	v_xor_b32_e32 v3, 0x7fffffff, v3
	s_waitcnt lgkmcnt(0)
	v_lshl_add_u64 v[28:29], v[28:29], 2, s[58:59]
	v_lshl_add_u64 v[28:29], v[28:29], 0, v[26:27]
	global_store_dword v[28:29], v3, off
.LBB15_87:
	s_or_b64 exec, exec, s[46:47]
	v_add_u32_e32 v3, 0x1200, v8
	v_cmp_gt_u32_e64 s[46:47], s73, v3
	v_lshlrev_b32_e32 v28, 2, v3
	s_and_saveexec_b64 s[48:49], s[46:47]
	s_cbranch_execz .LBB15_89
; %bb.88:
	ds_read_b32 v3, v2 offset:18688
	v_mov_b32_e32 v29, 0
	s_waitcnt lgkmcnt(0)
	v_lshrrev_b32_e32 v5, s68, v3
	v_and_b32_e32 v5, s33, v5
	v_lshlrev_b32_e32 v5, 3, v5
	ds_read_b64 v[30:31], v5
	v_xor_b32_e32 v3, 0x7fffffff, v3
	s_waitcnt lgkmcnt(0)
	v_lshl_add_u64 v[30:31], v[30:31], 2, s[58:59]
	v_lshl_add_u64 v[30:31], v[30:31], 0, v[28:29]
	global_store_dword v[30:31], v3, off
.LBB15_89:
	s_or_b64 exec, exec, s[48:49]
	v_or_b32_e32 v3, 0x1400, v8
	v_cmp_gt_u32_e64 s[48:49], s73, v3
	v_lshlrev_b32_e32 v30, 2, v3
	s_and_saveexec_b64 s[50:51], s[48:49]
	s_cbranch_execz .LBB15_91
; %bb.90:
	ds_read_b32 v3, v2 offset:20736
	v_mov_b32_e32 v31, 0
	s_waitcnt lgkmcnt(0)
	v_lshrrev_b32_e32 v5, s68, v3
	v_and_b32_e32 v5, s33, v5
	v_lshlrev_b32_e32 v5, 3, v5
	ds_read_b64 v[44:45], v5
	v_xor_b32_e32 v3, 0x7fffffff, v3
	s_waitcnt lgkmcnt(0)
	v_lshl_add_u64 v[44:45], v[44:45], 2, s[58:59]
	v_lshl_add_u64 v[44:45], v[44:45], 0, v[30:31]
	global_store_dword v[44:45], v3, off
.LBB15_91:
	s_or_b64 exec, exec, s[50:51]
	v_add_u32_e32 v3, 0x1600, v8
	v_cmp_gt_u32_e64 s[50:51], s73, v3
	v_lshlrev_b32_e32 v8, 2, v3
	s_and_saveexec_b64 s[74:75], s[50:51]
	s_cbranch_execz .LBB15_93
; %bb.92:
	ds_read_b32 v3, v2 offset:22784
	v_mov_b32_e32 v9, 0
	s_waitcnt lgkmcnt(0)
	v_lshrrev_b32_e32 v5, s68, v3
	v_and_b32_e32 v5, s33, v5
	v_lshlrev_b32_e32 v5, 3, v5
	ds_read_b64 v[44:45], v5
	v_xor_b32_e32 v3, 0x7fffffff, v3
	s_waitcnt lgkmcnt(0)
	v_lshl_add_u64 v[44:45], v[44:45], 2, s[58:59]
	v_lshl_add_u64 v[44:45], v[44:45], 0, v[8:9]
	global_store_dword v[44:45], v3, off
.LBB15_93:
	s_or_b64 exec, exec, s[74:75]
	s_add_u32 s70, s60, s70
	s_addc_u32 s71, s61, s71
	v_mov_b32_e32 v5, 0
	v_lshl_add_u64 v[44:45], s[70:71], 0, v[4:5]
	v_mov_b32_e32 v7, v5
	v_lshl_add_u64 v[4:5], v[44:45], 0, v[6:7]
                                        ; implicit-def: $vgpr3
	s_and_saveexec_b64 s[70:71], vcc
	s_xor_b64 s[70:71], exec, s[70:71]
	s_cbranch_execz .LBB15_105
; %bb.94:
	global_load_dword v3, v[4:5], off
	s_or_b64 exec, exec, s[70:71]
                                        ; implicit-def: $vgpr6
	s_and_saveexec_b64 s[70:71], s[52:53]
	s_cbranch_execnz .LBB15_106
.LBB15_95:
	s_or_b64 exec, exec, s[70:71]
                                        ; implicit-def: $vgpr7
	s_and_saveexec_b64 s[52:53], s[4:5]
	s_cbranch_execz .LBB15_107
.LBB15_96:
	global_load_dword v7, v[4:5], off offset:512
	s_or_b64 exec, exec, s[52:53]
                                        ; implicit-def: $vgpr9
	s_and_saveexec_b64 s[4:5], s[6:7]
	s_cbranch_execnz .LBB15_108
.LBB15_97:
	s_or_b64 exec, exec, s[4:5]
                                        ; implicit-def: $vgpr15
	s_and_saveexec_b64 s[4:5], s[8:9]
	s_cbranch_execz .LBB15_109
.LBB15_98:
	global_load_dword v15, v[4:5], off offset:1024
	s_or_b64 exec, exec, s[4:5]
                                        ; implicit-def: $vgpr17
	s_and_saveexec_b64 s[4:5], s[10:11]
	s_cbranch_execnz .LBB15_110
.LBB15_99:
	s_or_b64 exec, exec, s[4:5]
                                        ; implicit-def: $vgpr19
	s_and_saveexec_b64 s[4:5], s[12:13]
	s_cbranch_execz .LBB15_111
.LBB15_100:
	global_load_dword v19, v[4:5], off offset:1536
	s_or_b64 exec, exec, s[4:5]
                                        ; implicit-def: $vgpr21
	s_and_saveexec_b64 s[4:5], s[14:15]
	s_cbranch_execnz .LBB15_112
.LBB15_101:
	s_or_b64 exec, exec, s[4:5]
                                        ; implicit-def: $vgpr23
	s_and_saveexec_b64 s[4:5], s[16:17]
	s_cbranch_execz .LBB15_113
.LBB15_102:
	global_load_dword v23, v[4:5], off offset:2048
	s_or_b64 exec, exec, s[4:5]
                                        ; implicit-def: $vgpr44
	s_and_saveexec_b64 s[4:5], s[18:19]
	s_cbranch_execnz .LBB15_114
.LBB15_103:
	s_or_b64 exec, exec, s[4:5]
                                        ; implicit-def: $vgpr48
	s_and_saveexec_b64 s[4:5], s[20:21]
	s_cbranch_execz .LBB15_115
.LBB15_104:
	global_load_dword v48, v[4:5], off offset:2560
	s_or_b64 exec, exec, s[4:5]
                                        ; implicit-def: $vgpr51
	s_and_saveexec_b64 s[4:5], s[22:23]
	s_cbranch_execnz .LBB15_116
	s_branch .LBB15_117
.LBB15_105:
	s_or_b64 exec, exec, s[70:71]
                                        ; implicit-def: $vgpr6
	s_and_saveexec_b64 s[70:71], s[52:53]
	s_cbranch_execz .LBB15_95
.LBB15_106:
	global_load_dword v6, v[4:5], off offset:256
	s_or_b64 exec, exec, s[70:71]
                                        ; implicit-def: $vgpr7
	s_and_saveexec_b64 s[52:53], s[4:5]
	s_cbranch_execnz .LBB15_96
.LBB15_107:
	s_or_b64 exec, exec, s[52:53]
                                        ; implicit-def: $vgpr9
	s_and_saveexec_b64 s[4:5], s[6:7]
	s_cbranch_execz .LBB15_97
.LBB15_108:
	global_load_dword v9, v[4:5], off offset:768
	s_or_b64 exec, exec, s[4:5]
                                        ; implicit-def: $vgpr15
	s_and_saveexec_b64 s[4:5], s[8:9]
	s_cbranch_execnz .LBB15_98
.LBB15_109:
	s_or_b64 exec, exec, s[4:5]
                                        ; implicit-def: $vgpr17
	s_and_saveexec_b64 s[4:5], s[10:11]
	s_cbranch_execz .LBB15_99
.LBB15_110:
	global_load_dword v17, v[4:5], off offset:1280
	s_or_b64 exec, exec, s[4:5]
                                        ; implicit-def: $vgpr19
	s_and_saveexec_b64 s[4:5], s[12:13]
	s_cbranch_execnz .LBB15_100
.LBB15_111:
	s_or_b64 exec, exec, s[4:5]
                                        ; implicit-def: $vgpr21
	s_and_saveexec_b64 s[4:5], s[14:15]
	s_cbranch_execz .LBB15_101
.LBB15_112:
	global_load_dword v21, v[4:5], off offset:1792
	s_or_b64 exec, exec, s[4:5]
                                        ; implicit-def: $vgpr23
	s_and_saveexec_b64 s[4:5], s[16:17]
	s_cbranch_execnz .LBB15_102
.LBB15_113:
	s_or_b64 exec, exec, s[4:5]
                                        ; implicit-def: $vgpr44
	s_and_saveexec_b64 s[4:5], s[18:19]
	s_cbranch_execz .LBB15_103
.LBB15_114:
	global_load_dword v44, v[4:5], off offset:2304
	s_or_b64 exec, exec, s[4:5]
                                        ; implicit-def: $vgpr48
	s_and_saveexec_b64 s[4:5], s[20:21]
	s_cbranch_execnz .LBB15_104
.LBB15_115:
	s_or_b64 exec, exec, s[4:5]
                                        ; implicit-def: $vgpr51
	s_and_saveexec_b64 s[4:5], s[22:23]
	s_cbranch_execz .LBB15_117
.LBB15_116:
	global_load_dword v51, v[4:5], off offset:2816
.LBB15_117:
	s_or_b64 exec, exec, s[4:5]
	v_mov_b32_e32 v47, 0
	v_mov_b32_e32 v52, 0
	s_and_saveexec_b64 s[4:5], s[26:27]
	s_cbranch_execz .LBB15_119
; %bb.118:
	ds_read_b32 v4, v2 offset:256
	s_waitcnt lgkmcnt(0)
	v_lshrrev_b32_e32 v4, s68, v4
	v_and_b32_e32 v52, s33, v4
.LBB15_119:
	s_or_b64 exec, exec, s[4:5]
	s_and_saveexec_b64 s[4:5], s[28:29]
	s_cbranch_execz .LBB15_121
; %bb.120:
	ds_read_b32 v4, v2 offset:2304
	s_waitcnt lgkmcnt(0)
	v_lshrrev_b32_e32 v4, s68, v4
	v_and_b32_e32 v47, s33, v4
.LBB15_121:
	s_or_b64 exec, exec, s[4:5]
	v_mov_b32_e32 v45, 0
	v_mov_b32_e32 v50, 0
	s_and_saveexec_b64 s[4:5], s[30:31]
	s_cbranch_execz .LBB15_123
; %bb.122:
	ds_read_b32 v4, v2 offset:4352
	s_waitcnt lgkmcnt(0)
	v_lshrrev_b32_e32 v4, s68, v4
	v_and_b32_e32 v50, s33, v4
.LBB15_123:
	s_or_b64 exec, exec, s[4:5]
	s_and_saveexec_b64 s[4:5], s[34:35]
	s_cbranch_execz .LBB15_125
; %bb.124:
	ds_read_b32 v4, v2 offset:6400
	s_waitcnt lgkmcnt(0)
	v_lshrrev_b32_e32 v4, s68, v4
	v_and_b32_e32 v45, s33, v4
.LBB15_125:
	;; [unrolled: 20-line block ×6, first 2 shown]
	s_or_b64 exec, exec, s[4:5]
	s_barrier
	s_waitcnt vmcnt(0)
	ds_write_b32 v13, v3 offset:256
	ds_write_b32 v34, v6 offset:256
	;; [unrolled: 1-line block ×12, first 2 shown]
	s_waitcnt lgkmcnt(0)
	s_barrier
	s_and_saveexec_b64 s[4:5], s[26:27]
	s_cbranch_execz .LBB15_153
; %bb.142:
	v_lshlrev_b32_e32 v3, 3, v52
	ds_read_b64 v[6:7], v3
	ds_read_b32 v9, v2 offset:256
	v_mov_b32_e32 v3, 0
	s_waitcnt lgkmcnt(1)
	v_lshl_add_u64 v[6:7], v[6:7], 2, s[62:63]
	v_lshl_add_u64 v[6:7], v[6:7], 0, v[2:3]
	s_waitcnt lgkmcnt(0)
	global_store_dword v[6:7], v9, off
	s_or_b64 exec, exec, s[4:5]
	s_and_saveexec_b64 s[4:5], s[28:29]
	s_cbranch_execnz .LBB15_154
.LBB15_143:
	s_or_b64 exec, exec, s[4:5]
	s_and_saveexec_b64 s[4:5], s[30:31]
	s_cbranch_execz .LBB15_155
.LBB15_144:
	v_lshlrev_b32_e32 v3, 3, v50
	ds_read_b64 v[6:7], v3
	ds_read_b32 v3, v2 offset:4352
	v_mov_b32_e32 v15, 0
	s_waitcnt lgkmcnt(1)
	v_lshl_add_u64 v[6:7], v[6:7], 2, s[62:63]
	v_lshl_add_u64 v[6:7], v[6:7], 0, v[14:15]
	s_waitcnt lgkmcnt(0)
	global_store_dword v[6:7], v3, off
	s_or_b64 exec, exec, s[4:5]
	s_and_saveexec_b64 s[4:5], s[34:35]
	s_cbranch_execnz .LBB15_156
.LBB15_145:
	s_or_b64 exec, exec, s[4:5]
	s_and_saveexec_b64 s[4:5], s[36:37]
	s_cbranch_execz .LBB15_157
.LBB15_146:
	v_lshlrev_b32_e32 v3, 3, v49
	ds_read_b64 v[6:7], v3
	ds_read_b32 v3, v2 offset:8448
	v_mov_b32_e32 v19, 0
	s_waitcnt lgkmcnt(1)
	v_lshl_add_u64 v[6:7], v[6:7], 2, s[62:63]
	v_lshl_add_u64 v[6:7], v[6:7], 0, v[18:19]
	s_waitcnt lgkmcnt(0)
	global_store_dword v[6:7], v3, off
	s_or_b64 exec, exec, s[4:5]
	s_and_saveexec_b64 s[4:5], s[38:39]
	s_cbranch_execnz .LBB15_158
.LBB15_147:
	s_or_b64 exec, exec, s[4:5]
	s_and_saveexec_b64 s[4:5], s[40:41]
	s_cbranch_execz .LBB15_159
.LBB15_148:
	v_lshlrev_b32_e32 v3, 3, v46
	ds_read_b64 v[6:7], v3
	ds_read_b32 v3, v2 offset:12544
	v_mov_b32_e32 v23, 0
	s_waitcnt lgkmcnt(1)
	v_lshl_add_u64 v[6:7], v[6:7], 2, s[62:63]
	v_lshl_add_u64 v[6:7], v[6:7], 0, v[22:23]
	s_waitcnt lgkmcnt(0)
	global_store_dword v[6:7], v3, off
	s_or_b64 exec, exec, s[4:5]
	s_and_saveexec_b64 s[4:5], s[42:43]
	s_cbranch_execnz .LBB15_160
.LBB15_149:
	s_or_b64 exec, exec, s[4:5]
	s_and_saveexec_b64 s[4:5], s[44:45]
	s_cbranch_execz .LBB15_161
.LBB15_150:
	v_lshlrev_b32_e32 v3, 3, v29
	ds_read_b64 v[6:7], v3
	ds_read_b32 v3, v2 offset:16640
	v_mov_b32_e32 v27, 0
	s_waitcnt lgkmcnt(1)
	v_lshl_add_u64 v[6:7], v[6:7], 2, s[62:63]
	v_lshl_add_u64 v[6:7], v[6:7], 0, v[26:27]
	s_waitcnt lgkmcnt(0)
	global_store_dword v[6:7], v3, off
	s_or_b64 exec, exec, s[4:5]
	s_and_saveexec_b64 s[4:5], s[46:47]
	s_cbranch_execnz .LBB15_162
.LBB15_151:
	s_or_b64 exec, exec, s[4:5]
	s_and_saveexec_b64 s[4:5], s[48:49]
	s_cbranch_execz .LBB15_163
.LBB15_152:
	v_lshlrev_b32_e32 v3, 3, v31
	ds_read_b64 v[6:7], v3
	ds_read_b32 v3, v2 offset:20736
	v_mov_b32_e32 v31, 0
	s_waitcnt lgkmcnt(1)
	v_lshl_add_u64 v[6:7], v[6:7], 2, s[62:63]
	v_lshl_add_u64 v[6:7], v[6:7], 0, v[30:31]
	s_waitcnt lgkmcnt(0)
	global_store_dword v[6:7], v3, off
	s_or_b64 exec, exec, s[4:5]
	s_and_saveexec_b64 s[4:5], s[50:51]
	s_cbranch_execnz .LBB15_164
	s_branch .LBB15_165
.LBB15_153:
	s_or_b64 exec, exec, s[4:5]
	s_and_saveexec_b64 s[4:5], s[28:29]
	s_cbranch_execz .LBB15_143
.LBB15_154:
	v_lshlrev_b32_e32 v3, 3, v47
	ds_read_b64 v[6:7], v3
	ds_read_b32 v9, v2 offset:2304
	v_mov_b32_e32 v3, 0
	s_waitcnt lgkmcnt(1)
	v_lshl_add_u64 v[6:7], v[6:7], 2, s[62:63]
	v_lshl_add_u64 v[6:7], v[6:7], 0, v[2:3]
	s_waitcnt lgkmcnt(0)
	global_store_dword v[6:7], v9, off offset:2048
	s_or_b64 exec, exec, s[4:5]
	s_and_saveexec_b64 s[4:5], s[30:31]
	s_cbranch_execnz .LBB15_144
.LBB15_155:
	s_or_b64 exec, exec, s[4:5]
	s_and_saveexec_b64 s[4:5], s[34:35]
	s_cbranch_execz .LBB15_145
.LBB15_156:
	v_lshlrev_b32_e32 v3, 3, v45
	ds_read_b64 v[6:7], v3
	ds_read_b32 v3, v2 offset:6400
	v_mov_b32_e32 v17, 0
	s_waitcnt lgkmcnt(1)
	v_lshl_add_u64 v[6:7], v[6:7], 2, s[62:63]
	v_lshl_add_u64 v[6:7], v[6:7], 0, v[16:17]
	s_waitcnt lgkmcnt(0)
	global_store_dword v[6:7], v3, off
	s_or_b64 exec, exec, s[4:5]
	s_and_saveexec_b64 s[4:5], s[36:37]
	s_cbranch_execnz .LBB15_146
.LBB15_157:
	s_or_b64 exec, exec, s[4:5]
	s_and_saveexec_b64 s[4:5], s[38:39]
	s_cbranch_execz .LBB15_147
.LBB15_158:
	v_lshlrev_b32_e32 v3, 3, v27
	ds_read_b64 v[6:7], v3
	ds_read_b32 v3, v2 offset:10496
	v_mov_b32_e32 v21, 0
	s_waitcnt lgkmcnt(1)
	v_lshl_add_u64 v[6:7], v[6:7], 2, s[62:63]
	v_lshl_add_u64 v[6:7], v[6:7], 0, v[20:21]
	s_waitcnt lgkmcnt(0)
	global_store_dword v[6:7], v3, off
	s_or_b64 exec, exec, s[4:5]
	s_and_saveexec_b64 s[4:5], s[40:41]
	s_cbranch_execnz .LBB15_148
.LBB15_159:
	s_or_b64 exec, exec, s[4:5]
	s_and_saveexec_b64 s[4:5], s[42:43]
	s_cbranch_execz .LBB15_149
.LBB15_160:
	v_lshlrev_b32_e32 v3, 3, v25
	ds_read_b64 v[6:7], v3
	ds_read_b32 v3, v2 offset:14592
	v_mov_b32_e32 v25, 0
	s_waitcnt lgkmcnt(1)
	v_lshl_add_u64 v[6:7], v[6:7], 2, s[62:63]
	v_lshl_add_u64 v[6:7], v[6:7], 0, v[24:25]
	s_waitcnt lgkmcnt(0)
	global_store_dword v[6:7], v3, off
	s_or_b64 exec, exec, s[4:5]
	s_and_saveexec_b64 s[4:5], s[44:45]
	s_cbranch_execnz .LBB15_150
.LBB15_161:
	s_or_b64 exec, exec, s[4:5]
	s_and_saveexec_b64 s[4:5], s[46:47]
	s_cbranch_execz .LBB15_151
.LBB15_162:
	v_lshlrev_b32_e32 v3, 3, v5
	ds_read_b64 v[6:7], v3
	ds_read_b32 v3, v2 offset:18688
	v_mov_b32_e32 v29, 0
	s_waitcnt lgkmcnt(1)
	v_lshl_add_u64 v[6:7], v[6:7], 2, s[62:63]
	v_lshl_add_u64 v[6:7], v[6:7], 0, v[28:29]
	s_waitcnt lgkmcnt(0)
	global_store_dword v[6:7], v3, off
	s_or_b64 exec, exec, s[4:5]
	s_and_saveexec_b64 s[4:5], s[48:49]
	s_cbranch_execnz .LBB15_152
.LBB15_163:
	s_or_b64 exec, exec, s[4:5]
	s_and_saveexec_b64 s[4:5], s[50:51]
	s_cbranch_execz .LBB15_165
.LBB15_164:
	v_lshlrev_b32_e32 v3, 3, v4
	ds_read_b64 v[4:5], v3
	ds_read_b32 v6, v2 offset:22784
	v_mov_b32_e32 v9, 0
	s_waitcnt lgkmcnt(1)
	v_lshl_add_u64 v[2:3], v[4:5], 2, s[62:63]
	v_lshl_add_u64 v[2:3], v[2:3], 0, v[8:9]
	s_waitcnt lgkmcnt(0)
	global_store_dword v[2:3], v6, off
.LBB15_165:
	s_or_b64 exec, exec, s[4:5]
	s_add_i32 s3, s3, -1
	s_cmp_eq_u32 s2, s3
	s_cselect_b64 s[4:5], -1, 0
	s_xor_b64 s[6:7], s[24:25], -1
	s_and_b64 s[6:7], s[6:7], s[4:5]
	s_and_saveexec_b64 s[4:5], s[6:7]
	s_cbranch_execz .LBB15_167
; %bb.166:
	ds_read_b64 v[2:3], v32
	v_mov_b32_e32 v13, 0
	v_lshl_add_u64 v[4:5], v[10:11], 0, v[12:13]
	s_waitcnt lgkmcnt(0)
	v_lshl_add_u64 v[2:3], v[4:5], 0, v[2:3]
	global_store_dwordx2 v32, v[2:3], s[66:67]
.LBB15_167:
	s_or_b64 exec, exec, s[4:5]
	s_mov_b64 s[4:5], 0
.LBB15_168:
	s_and_b64 vcc, exec, s[4:5]
	s_cbranch_vccz .LBB15_215
; %bb.169:
	s_mov_b32 s73, 0
	s_lshl_b64 s[10:11], s[72:73], 2
	s_add_u32 s4, s56, s10
	v_mov_b32_e32 v9, 0
	v_mbcnt_hi_u32_b32 v1, -1, v1
	v_and_b32_e32 v7, 0x1c0, v0
	s_addc_u32 s5, s57, s11
	v_mul_u32_u24_e32 v4, 12, v7
	v_lshlrev_b32_e32 v2, 2, v1
	v_mov_b32_e32 v3, v9
	v_lshl_add_u64 v[10:11], s[4:5], 0, v[2:3]
	v_lshlrev_b32_e32 v4, 2, v4
	v_mov_b32_e32 v5, v9
	v_lshl_add_u64 v[10:11], v[10:11], 0, v[4:5]
	global_load_dword v3, v[10:11], off
	s_load_dword s4, s[0:1], 0x5c
	s_load_dword s3, s[0:1], 0x50
	s_add_u32 s0, s0, 0x50
	s_addc_u32 s1, s1, 0
	v_bfe_u32 v8, v0, 10, 10
	s_waitcnt lgkmcnt(0)
	s_lshr_b32 s4, s4, 16
	s_cmp_lt_u32 s2, s3
	s_cselect_b32 s5, 12, 18
	s_add_u32 s0, s0, s5
	s_addc_u32 s1, s1, 0
	global_load_ushort v5, v9, s[0:1]
	global_load_dword v12, v[10:11], off offset:256
	global_load_dword v17, v[10:11], off offset:512
	;; [unrolled: 1-line block ×11, first 2 shown]
	v_bfe_u32 v11, v0, 20, 10
	v_mad_u32_u24 v13, v11, s4, v8
	s_lshl_b32 s0, -1, s69
	v_and_b32_e32 v6, 0x3ff, v0
	v_mov_b32_e32 v10, v9
	v_mov_b32_e32 v14, v9
	s_not_b32 s14, s0
	v_mov_b32_e32 v22, v9
	v_mov_b32_e32 v28, v9
	v_lshlrev_b32_e32 v0, 2, v6
	ds_write_b32 v0, v9 offset:32
	s_waitcnt lgkmcnt(0)
	s_barrier
	s_waitcnt vmcnt(12)
	; wave barrier
	v_xor_b32_e32 v3, 0x7fffffff, v3
	v_lshrrev_b32_e32 v8, s68, v3
	v_bitop3_b32 v16, v8, s0, v8 bitop3:0x30
	v_and_b32_e32 v8, 1, v16
	v_lshlrev_b32_e32 v11, 30, v16
	v_lshlrev_b32_e32 v15, 29, v16
	s_waitcnt vmcnt(11)
	v_mad_u64_u32 v[38:39], s[0:1], v13, v5, v[6:7]
	v_lshl_add_u64 v[42:43], v[8:9], 0, -1
	v_cmp_ne_u32_e32 vcc, 0, v8
	v_not_b32_e32 v5, v11
	v_lshlrev_b32_e32 v23, 28, v16
	v_lshlrev_b32_e32 v29, 27, v16
	v_cmp_gt_i64_e64 s[0:1], 0, v[10:11]
	v_cmp_gt_i64_e64 s[4:5], 0, v[14:15]
	v_not_b32_e32 v8, v15
	v_xor_b32_e32 v15, vcc_lo, v42
	v_ashrrev_i32_e32 v5, 31, v5
	v_mul_lo_u32 v18, v16, 36
	v_not_b32_e32 v10, v23
	v_not_b32_e32 v11, v29
	v_lshrrev_b32_e32 v25, 6, v38
	v_xor_b32_e32 v13, vcc_hi, v43
	v_ashrrev_i32_e32 v8, 31, v8
	v_and_b32_e32 v15, exec_lo, v15
	v_xor_b32_e32 v16, s1, v5
	v_xor_b32_e32 v5, s0, v5
	v_cmp_gt_i64_e64 s[6:7], 0, v[22:23]
	v_cmp_gt_i64_e64 s[8:9], 0, v[28:29]
	v_ashrrev_i32_e32 v10, 31, v10
	v_ashrrev_i32_e32 v11, 31, v11
	v_lshl_add_u32 v14, v25, 2, v18
	v_and_b32_e32 v13, exec_hi, v13
	v_xor_b32_e32 v18, s5, v8
	v_xor_b32_e32 v8, s4, v8
	v_and_b32_e32 v5, v15, v5
	v_xor_b32_e32 v20, s7, v10
	v_xor_b32_e32 v10, s6, v10
	;; [unrolled: 1-line block ×4, first 2 shown]
	v_and_b32_e32 v11, v13, v16
	v_and_b32_e32 v5, v5, v8
	;; [unrolled: 1-line block ×7, first 2 shown]
	v_mbcnt_lo_u32_b32 v5, v10, 0
	v_mbcnt_hi_u32_b32 v5, v11, v5
	v_cmp_eq_u32_e32 vcc, 0, v5
	v_cmp_ne_u64_e64 s[0:1], 0, v[10:11]
	s_and_b64 s[4:5], s[0:1], vcc
	s_and_saveexec_b64 s[0:1], s[4:5]
; %bb.170:
	v_bcnt_u32_b32 v8, v10, 0
	v_bcnt_u32_b32 v8, v11, v8
	ds_write_b32 v14, v8 offset:32
; %bb.171:
	s_or_b64 exec, exec, s[0:1]
	s_waitcnt vmcnt(10)
	v_xor_b32_e32 v12, 0x7fffffff, v12
	v_lshrrev_b32_e32 v8, s68, v12
	v_and_b32_e32 v15, s14, v8
	v_mul_lo_u32 v8, v15, 36
	v_lshl_add_u32 v16, v25, 2, v8
	v_and_b32_e32 v8, 1, v15
	v_lshl_add_u64 v[10:11], v[8:9], 0, -1
	v_cmp_ne_u32_e32 vcc, 0, v8
	; wave barrier
	s_nop 1
	v_xor_b32_e32 v10, vcc_lo, v10
	v_xor_b32_e32 v8, vcc_hi, v11
	v_and_b32_e32 v18, exec_lo, v10
	v_lshlrev_b32_e32 v11, 30, v15
	v_mov_b32_e32 v10, v9
	v_cmp_gt_i64_e32 vcc, 0, v[10:11]
	v_not_b32_e32 v10, v11
	v_ashrrev_i32_e32 v10, 31, v10
	v_and_b32_e32 v8, exec_hi, v8
	v_xor_b32_e32 v11, vcc_hi, v10
	v_xor_b32_e32 v10, vcc_lo, v10
	v_and_b32_e32 v8, v8, v11
	v_and_b32_e32 v18, v18, v10
	v_lshlrev_b32_e32 v11, 29, v15
	v_mov_b32_e32 v10, v9
	v_cmp_gt_i64_e32 vcc, 0, v[10:11]
	v_not_b32_e32 v10, v11
	v_ashrrev_i32_e32 v10, 31, v10
	v_xor_b32_e32 v11, vcc_hi, v10
	v_xor_b32_e32 v10, vcc_lo, v10
	v_and_b32_e32 v8, v8, v11
	v_and_b32_e32 v18, v18, v10
	v_lshlrev_b32_e32 v11, 28, v15
	v_mov_b32_e32 v10, v9
	v_cmp_gt_i64_e32 vcc, 0, v[10:11]
	v_not_b32_e32 v10, v11
	v_ashrrev_i32_e32 v10, 31, v10
	v_xor_b32_e32 v11, vcc_hi, v10
	v_xor_b32_e32 v10, vcc_lo, v10
	v_and_b32_e32 v8, v8, v11
	v_lshlrev_b32_e32 v11, 27, v15
	v_and_b32_e32 v18, v18, v10
	v_mov_b32_e32 v10, v9
	v_not_b32_e32 v9, v11
	v_cmp_gt_i64_e32 vcc, 0, v[10:11]
	v_ashrrev_i32_e32 v9, 31, v9
	ds_read_b32 v13, v16 offset:32
	v_xor_b32_e32 v10, vcc_hi, v9
	v_xor_b32_e32 v11, vcc_lo, v9
	v_and_b32_e32 v9, v8, v10
	v_and_b32_e32 v8, v18, v11
	v_mbcnt_lo_u32_b32 v10, v8, 0
	v_mbcnt_hi_u32_b32 v15, v9, v10
	v_cmp_eq_u32_e32 vcc, 0, v15
	v_cmp_ne_u64_e64 s[0:1], 0, v[8:9]
	s_and_b64 s[4:5], s[0:1], vcc
	; wave barrier
	s_and_saveexec_b64 s[0:1], s[4:5]
	s_cbranch_execz .LBB15_173
; %bb.172:
	v_bcnt_u32_b32 v8, v8, 0
	v_bcnt_u32_b32 v8, v9, v8
	s_waitcnt lgkmcnt(0)
	v_add_u32_e32 v8, v13, v8
	ds_write_b32 v16, v8 offset:32
.LBB15_173:
	s_or_b64 exec, exec, s[0:1]
	s_waitcnt vmcnt(9)
	v_xor_b32_e32 v17, 0x7fffffff, v17
	v_lshrrev_b32_e32 v8, s68, v17
	v_and_b32_e32 v20, s14, v8
	v_mul_lo_u32 v8, v20, 36
	v_lshl_add_u32 v22, v25, 2, v8
	v_and_b32_e32 v8, 1, v20
	v_mov_b32_e32 v9, 0
	v_lshl_add_u64 v[10:11], v[8:9], 0, -1
	v_cmp_ne_u32_e32 vcc, 0, v8
	; wave barrier
	s_nop 1
	v_xor_b32_e32 v10, vcc_lo, v10
	v_xor_b32_e32 v8, vcc_hi, v11
	v_and_b32_e32 v23, exec_lo, v10
	v_lshlrev_b32_e32 v11, 30, v20
	v_mov_b32_e32 v10, v9
	v_cmp_gt_i64_e32 vcc, 0, v[10:11]
	v_not_b32_e32 v10, v11
	v_ashrrev_i32_e32 v10, 31, v10
	v_and_b32_e32 v8, exec_hi, v8
	v_xor_b32_e32 v11, vcc_hi, v10
	v_xor_b32_e32 v10, vcc_lo, v10
	v_and_b32_e32 v8, v8, v11
	v_and_b32_e32 v23, v23, v10
	v_lshlrev_b32_e32 v11, 29, v20
	v_mov_b32_e32 v10, v9
	v_cmp_gt_i64_e32 vcc, 0, v[10:11]
	v_not_b32_e32 v10, v11
	v_ashrrev_i32_e32 v10, 31, v10
	v_xor_b32_e32 v11, vcc_hi, v10
	v_xor_b32_e32 v10, vcc_lo, v10
	v_and_b32_e32 v8, v8, v11
	v_and_b32_e32 v23, v23, v10
	v_lshlrev_b32_e32 v11, 28, v20
	v_mov_b32_e32 v10, v9
	v_cmp_gt_i64_e32 vcc, 0, v[10:11]
	v_not_b32_e32 v10, v11
	v_ashrrev_i32_e32 v10, 31, v10
	;; [unrolled: 9-line block ×3, first 2 shown]
	v_xor_b32_e32 v11, vcc_hi, v10
	v_xor_b32_e32 v10, vcc_lo, v10
	ds_read_b32 v18, v22 offset:32
	v_and_b32_e32 v10, v23, v10
	v_and_b32_e32 v11, v8, v11
	v_mbcnt_lo_u32_b32 v8, v10, 0
	v_mbcnt_hi_u32_b32 v20, v11, v8
	v_cmp_eq_u32_e32 vcc, 0, v20
	v_cmp_ne_u64_e64 s[0:1], 0, v[10:11]
	s_and_b64 s[4:5], s[0:1], vcc
	; wave barrier
	s_and_saveexec_b64 s[0:1], s[4:5]
	s_cbranch_execz .LBB15_175
; %bb.174:
	v_bcnt_u32_b32 v8, v10, 0
	v_bcnt_u32_b32 v8, v11, v8
	s_waitcnt lgkmcnt(0)
	v_add_u32_e32 v8, v18, v8
	ds_write_b32 v22, v8 offset:32
.LBB15_175:
	s_or_b64 exec, exec, s[0:1]
	s_waitcnt vmcnt(8)
	v_xor_b32_e32 v21, 0x7fffffff, v21
	v_lshrrev_b32_e32 v8, s68, v21
	v_and_b32_e32 v26, s14, v8
	v_mul_lo_u32 v8, v26, 36
	v_lshl_add_u32 v28, v25, 2, v8
	v_and_b32_e32 v8, 1, v26
	v_lshl_add_u64 v[10:11], v[8:9], 0, -1
	v_cmp_ne_u32_e32 vcc, 0, v8
	; wave barrier
	s_nop 1
	v_xor_b32_e32 v10, vcc_lo, v10
	v_xor_b32_e32 v8, vcc_hi, v11
	v_and_b32_e32 v29, exec_lo, v10
	v_lshlrev_b32_e32 v11, 30, v26
	v_mov_b32_e32 v10, v9
	v_cmp_gt_i64_e32 vcc, 0, v[10:11]
	v_not_b32_e32 v10, v11
	v_ashrrev_i32_e32 v10, 31, v10
	v_and_b32_e32 v8, exec_hi, v8
	v_xor_b32_e32 v11, vcc_hi, v10
	v_xor_b32_e32 v10, vcc_lo, v10
	v_and_b32_e32 v8, v8, v11
	v_and_b32_e32 v29, v29, v10
	v_lshlrev_b32_e32 v11, 29, v26
	v_mov_b32_e32 v10, v9
	v_cmp_gt_i64_e32 vcc, 0, v[10:11]
	v_not_b32_e32 v10, v11
	v_ashrrev_i32_e32 v10, 31, v10
	v_xor_b32_e32 v11, vcc_hi, v10
	v_xor_b32_e32 v10, vcc_lo, v10
	v_and_b32_e32 v8, v8, v11
	v_and_b32_e32 v29, v29, v10
	v_lshlrev_b32_e32 v11, 28, v26
	v_mov_b32_e32 v10, v9
	v_cmp_gt_i64_e32 vcc, 0, v[10:11]
	v_not_b32_e32 v10, v11
	v_ashrrev_i32_e32 v10, 31, v10
	v_xor_b32_e32 v11, vcc_hi, v10
	v_xor_b32_e32 v10, vcc_lo, v10
	v_and_b32_e32 v8, v8, v11
	v_lshlrev_b32_e32 v11, 27, v26
	v_and_b32_e32 v29, v29, v10
	v_mov_b32_e32 v10, v9
	v_not_b32_e32 v9, v11
	v_cmp_gt_i64_e32 vcc, 0, v[10:11]
	v_ashrrev_i32_e32 v9, 31, v9
	ds_read_b32 v23, v28 offset:32
	v_xor_b32_e32 v10, vcc_hi, v9
	v_xor_b32_e32 v11, vcc_lo, v9
	v_and_b32_e32 v9, v8, v10
	v_and_b32_e32 v8, v29, v11
	v_mbcnt_lo_u32_b32 v10, v8, 0
	v_mbcnt_hi_u32_b32 v26, v9, v10
	v_cmp_eq_u32_e32 vcc, 0, v26
	v_cmp_ne_u64_e64 s[0:1], 0, v[8:9]
	s_and_b64 s[4:5], s[0:1], vcc
	; wave barrier
	s_and_saveexec_b64 s[0:1], s[4:5]
	s_cbranch_execz .LBB15_177
; %bb.176:
	v_bcnt_u32_b32 v8, v8, 0
	v_bcnt_u32_b32 v8, v9, v8
	s_waitcnt lgkmcnt(0)
	v_add_u32_e32 v8, v23, v8
	ds_write_b32 v28, v8 offset:32
.LBB15_177:
	s_or_b64 exec, exec, s[0:1]
	s_waitcnt vmcnt(7)
	v_xor_b32_e32 v27, 0x7fffffff, v27
	v_lshrrev_b32_e32 v8, s68, v27
	v_and_b32_e32 v31, s14, v8
	v_mul_lo_u32 v8, v31, 36
	v_lshl_add_u32 v33, v25, 2, v8
	v_and_b32_e32 v8, 1, v31
	v_mov_b32_e32 v9, 0
	v_lshl_add_u64 v[10:11], v[8:9], 0, -1
	v_cmp_ne_u32_e32 vcc, 0, v8
	; wave barrier
	s_nop 1
	v_xor_b32_e32 v10, vcc_lo, v10
	v_xor_b32_e32 v8, vcc_hi, v11
	v_and_b32_e32 v34, exec_lo, v10
	v_lshlrev_b32_e32 v11, 30, v31
	v_mov_b32_e32 v10, v9
	v_cmp_gt_i64_e32 vcc, 0, v[10:11]
	v_not_b32_e32 v10, v11
	v_ashrrev_i32_e32 v10, 31, v10
	v_and_b32_e32 v8, exec_hi, v8
	v_xor_b32_e32 v11, vcc_hi, v10
	v_xor_b32_e32 v10, vcc_lo, v10
	v_and_b32_e32 v8, v8, v11
	v_and_b32_e32 v34, v34, v10
	v_lshlrev_b32_e32 v11, 29, v31
	v_mov_b32_e32 v10, v9
	v_cmp_gt_i64_e32 vcc, 0, v[10:11]
	v_not_b32_e32 v10, v11
	v_ashrrev_i32_e32 v10, 31, v10
	v_xor_b32_e32 v11, vcc_hi, v10
	v_xor_b32_e32 v10, vcc_lo, v10
	v_and_b32_e32 v8, v8, v11
	v_and_b32_e32 v34, v34, v10
	v_lshlrev_b32_e32 v11, 28, v31
	v_mov_b32_e32 v10, v9
	v_cmp_gt_i64_e32 vcc, 0, v[10:11]
	v_not_b32_e32 v10, v11
	v_ashrrev_i32_e32 v10, 31, v10
	v_xor_b32_e32 v11, vcc_hi, v10
	v_xor_b32_e32 v10, vcc_lo, v10
	v_and_b32_e32 v8, v8, v11
	v_and_b32_e32 v34, v34, v10
	v_lshlrev_b32_e32 v11, 27, v31
	v_mov_b32_e32 v10, v9
	v_cmp_gt_i64_e32 vcc, 0, v[10:11]
	v_not_b32_e32 v10, v11
	v_ashrrev_i32_e32 v10, 31, v10
	v_xor_b32_e32 v11, vcc_hi, v10
	v_xor_b32_e32 v10, vcc_lo, v10
	ds_read_b32 v29, v33 offset:32
	v_and_b32_e32 v10, v34, v10
	v_and_b32_e32 v11, v8, v11
	v_mbcnt_lo_u32_b32 v8, v10, 0
	v_mbcnt_hi_u32_b32 v31, v11, v8
	v_cmp_eq_u32_e32 vcc, 0, v31
	v_cmp_ne_u64_e64 s[0:1], 0, v[10:11]
	s_and_b64 s[4:5], s[0:1], vcc
	; wave barrier
	s_and_saveexec_b64 s[0:1], s[4:5]
	s_cbranch_execz .LBB15_179
; %bb.178:
	v_bcnt_u32_b32 v8, v10, 0
	v_bcnt_u32_b32 v8, v11, v8
	s_waitcnt lgkmcnt(0)
	v_add_u32_e32 v8, v29, v8
	ds_write_b32 v33, v8 offset:32
.LBB15_179:
	s_or_b64 exec, exec, s[0:1]
	s_waitcnt vmcnt(6)
	v_xor_b32_e32 v32, 0x7fffffff, v32
	v_lshrrev_b32_e32 v8, s68, v32
	v_and_b32_e32 v36, s14, v8
	v_mul_lo_u32 v8, v36, 36
	v_lshl_add_u32 v39, v25, 2, v8
	v_and_b32_e32 v8, 1, v36
	v_lshl_add_u64 v[10:11], v[8:9], 0, -1
	v_cmp_ne_u32_e32 vcc, 0, v8
	; wave barrier
	s_nop 1
	v_xor_b32_e32 v10, vcc_lo, v10
	v_xor_b32_e32 v8, vcc_hi, v11
	v_and_b32_e32 v38, exec_lo, v10
	v_lshlrev_b32_e32 v11, 30, v36
	v_mov_b32_e32 v10, v9
	v_cmp_gt_i64_e32 vcc, 0, v[10:11]
	v_not_b32_e32 v10, v11
	v_ashrrev_i32_e32 v10, 31, v10
	v_and_b32_e32 v8, exec_hi, v8
	v_xor_b32_e32 v11, vcc_hi, v10
	v_xor_b32_e32 v10, vcc_lo, v10
	v_and_b32_e32 v8, v8, v11
	v_and_b32_e32 v38, v38, v10
	v_lshlrev_b32_e32 v11, 29, v36
	v_mov_b32_e32 v10, v9
	v_cmp_gt_i64_e32 vcc, 0, v[10:11]
	v_not_b32_e32 v10, v11
	v_ashrrev_i32_e32 v10, 31, v10
	v_xor_b32_e32 v11, vcc_hi, v10
	v_xor_b32_e32 v10, vcc_lo, v10
	v_and_b32_e32 v8, v8, v11
	v_and_b32_e32 v38, v38, v10
	v_lshlrev_b32_e32 v11, 28, v36
	v_mov_b32_e32 v10, v9
	v_cmp_gt_i64_e32 vcc, 0, v[10:11]
	v_not_b32_e32 v10, v11
	v_ashrrev_i32_e32 v10, 31, v10
	v_xor_b32_e32 v11, vcc_hi, v10
	v_xor_b32_e32 v10, vcc_lo, v10
	v_and_b32_e32 v8, v8, v11
	v_lshlrev_b32_e32 v11, 27, v36
	v_and_b32_e32 v38, v38, v10
	v_mov_b32_e32 v10, v9
	v_not_b32_e32 v9, v11
	v_cmp_gt_i64_e32 vcc, 0, v[10:11]
	v_ashrrev_i32_e32 v9, 31, v9
	ds_read_b32 v34, v39 offset:32
	v_xor_b32_e32 v10, vcc_hi, v9
	v_xor_b32_e32 v11, vcc_lo, v9
	v_and_b32_e32 v9, v8, v10
	v_and_b32_e32 v8, v38, v11
	v_mbcnt_lo_u32_b32 v10, v8, 0
	v_mbcnt_hi_u32_b32 v36, v9, v10
	v_cmp_eq_u32_e32 vcc, 0, v36
	v_cmp_ne_u64_e64 s[0:1], 0, v[8:9]
	s_and_b64 s[4:5], s[0:1], vcc
	; wave barrier
	s_and_saveexec_b64 s[0:1], s[4:5]
	s_cbranch_execz .LBB15_181
; %bb.180:
	v_bcnt_u32_b32 v8, v8, 0
	v_bcnt_u32_b32 v8, v9, v8
	s_waitcnt lgkmcnt(0)
	v_add_u32_e32 v8, v34, v8
	ds_write_b32 v39, v8 offset:32
.LBB15_181:
	s_or_b64 exec, exec, s[0:1]
	s_waitcnt vmcnt(5)
	v_xor_b32_e32 v37, 0x7fffffff, v37
	v_lshrrev_b32_e32 v8, s68, v37
	v_and_b32_e32 v41, s14, v8
	v_mul_lo_u32 v8, v41, 36
	v_lshl_add_u32 v43, v25, 2, v8
	v_and_b32_e32 v8, 1, v41
	v_mov_b32_e32 v9, 0
	v_lshl_add_u64 v[10:11], v[8:9], 0, -1
	v_cmp_ne_u32_e32 vcc, 0, v8
	; wave barrier
	s_nop 1
	v_xor_b32_e32 v10, vcc_lo, v10
	v_xor_b32_e32 v8, vcc_hi, v11
	v_and_b32_e32 v42, exec_lo, v10
	v_lshlrev_b32_e32 v11, 30, v41
	v_mov_b32_e32 v10, v9
	v_cmp_gt_i64_e32 vcc, 0, v[10:11]
	v_not_b32_e32 v10, v11
	v_ashrrev_i32_e32 v10, 31, v10
	v_and_b32_e32 v8, exec_hi, v8
	v_xor_b32_e32 v11, vcc_hi, v10
	v_xor_b32_e32 v10, vcc_lo, v10
	v_and_b32_e32 v8, v8, v11
	v_and_b32_e32 v42, v42, v10
	v_lshlrev_b32_e32 v11, 29, v41
	v_mov_b32_e32 v10, v9
	v_cmp_gt_i64_e32 vcc, 0, v[10:11]
	v_not_b32_e32 v10, v11
	v_ashrrev_i32_e32 v10, 31, v10
	v_xor_b32_e32 v11, vcc_hi, v10
	v_xor_b32_e32 v10, vcc_lo, v10
	v_and_b32_e32 v8, v8, v11
	v_and_b32_e32 v42, v42, v10
	v_lshlrev_b32_e32 v11, 28, v41
	v_mov_b32_e32 v10, v9
	v_cmp_gt_i64_e32 vcc, 0, v[10:11]
	v_not_b32_e32 v10, v11
	v_ashrrev_i32_e32 v10, 31, v10
	;; [unrolled: 9-line block ×3, first 2 shown]
	v_xor_b32_e32 v11, vcc_hi, v10
	v_xor_b32_e32 v10, vcc_lo, v10
	ds_read_b32 v38, v43 offset:32
	v_and_b32_e32 v10, v42, v10
	v_and_b32_e32 v11, v8, v11
	v_mbcnt_lo_u32_b32 v8, v10, 0
	v_mbcnt_hi_u32_b32 v41, v11, v8
	v_cmp_eq_u32_e32 vcc, 0, v41
	v_cmp_ne_u64_e64 s[0:1], 0, v[10:11]
	s_and_b64 s[4:5], s[0:1], vcc
	; wave barrier
	s_and_saveexec_b64 s[0:1], s[4:5]
	s_cbranch_execz .LBB15_183
; %bb.182:
	v_bcnt_u32_b32 v8, v10, 0
	v_bcnt_u32_b32 v8, v11, v8
	s_waitcnt lgkmcnt(0)
	v_add_u32_e32 v8, v38, v8
	ds_write_b32 v43, v8 offset:32
.LBB15_183:
	s_or_b64 exec, exec, s[0:1]
	s_waitcnt vmcnt(4)
	v_xor_b32_e32 v40, 0x7fffffff, v40
	v_lshrrev_b32_e32 v8, s68, v40
	v_and_b32_e32 v44, s14, v8
	v_mul_lo_u32 v8, v44, 36
	v_lshl_add_u32 v46, v25, 2, v8
	v_and_b32_e32 v8, 1, v44
	v_lshl_add_u64 v[10:11], v[8:9], 0, -1
	v_cmp_ne_u32_e32 vcc, 0, v8
	; wave barrier
	s_nop 1
	v_xor_b32_e32 v10, vcc_lo, v10
	v_xor_b32_e32 v8, vcc_hi, v11
	v_and_b32_e32 v45, exec_lo, v10
	v_lshlrev_b32_e32 v11, 30, v44
	v_mov_b32_e32 v10, v9
	v_cmp_gt_i64_e32 vcc, 0, v[10:11]
	v_not_b32_e32 v10, v11
	v_ashrrev_i32_e32 v10, 31, v10
	v_and_b32_e32 v8, exec_hi, v8
	v_xor_b32_e32 v11, vcc_hi, v10
	v_xor_b32_e32 v10, vcc_lo, v10
	v_and_b32_e32 v8, v8, v11
	v_and_b32_e32 v45, v45, v10
	v_lshlrev_b32_e32 v11, 29, v44
	v_mov_b32_e32 v10, v9
	v_cmp_gt_i64_e32 vcc, 0, v[10:11]
	v_not_b32_e32 v10, v11
	v_ashrrev_i32_e32 v10, 31, v10
	v_xor_b32_e32 v11, vcc_hi, v10
	v_xor_b32_e32 v10, vcc_lo, v10
	v_and_b32_e32 v8, v8, v11
	v_and_b32_e32 v45, v45, v10
	v_lshlrev_b32_e32 v11, 28, v44
	v_mov_b32_e32 v10, v9
	v_cmp_gt_i64_e32 vcc, 0, v[10:11]
	v_not_b32_e32 v10, v11
	v_ashrrev_i32_e32 v10, 31, v10
	v_xor_b32_e32 v11, vcc_hi, v10
	v_xor_b32_e32 v10, vcc_lo, v10
	v_and_b32_e32 v8, v8, v11
	v_lshlrev_b32_e32 v11, 27, v44
	v_and_b32_e32 v45, v45, v10
	v_mov_b32_e32 v10, v9
	v_not_b32_e32 v9, v11
	v_cmp_gt_i64_e32 vcc, 0, v[10:11]
	v_ashrrev_i32_e32 v9, 31, v9
	ds_read_b32 v42, v46 offset:32
	v_xor_b32_e32 v10, vcc_hi, v9
	v_xor_b32_e32 v11, vcc_lo, v9
	v_and_b32_e32 v9, v8, v10
	v_and_b32_e32 v8, v45, v11
	v_mbcnt_lo_u32_b32 v10, v8, 0
	v_mbcnt_hi_u32_b32 v44, v9, v10
	v_cmp_eq_u32_e32 vcc, 0, v44
	v_cmp_ne_u64_e64 s[0:1], 0, v[8:9]
	s_and_b64 s[4:5], s[0:1], vcc
	; wave barrier
	s_and_saveexec_b64 s[0:1], s[4:5]
	s_cbranch_execz .LBB15_185
; %bb.184:
	v_bcnt_u32_b32 v8, v8, 0
	v_bcnt_u32_b32 v8, v9, v8
	s_waitcnt lgkmcnt(0)
	v_add_u32_e32 v8, v42, v8
	ds_write_b32 v46, v8 offset:32
.LBB15_185:
	s_or_b64 exec, exec, s[0:1]
	s_waitcnt vmcnt(3)
	v_xor_b32_e32 v35, 0x7fffffff, v35
	v_lshrrev_b32_e32 v8, s68, v35
	v_and_b32_e32 v47, s14, v8
	v_mul_lo_u32 v8, v47, 36
	v_lshl_add_u32 v49, v25, 2, v8
	v_and_b32_e32 v8, 1, v47
	v_mov_b32_e32 v9, 0
	v_lshl_add_u64 v[10:11], v[8:9], 0, -1
	v_cmp_ne_u32_e32 vcc, 0, v8
	; wave barrier
	s_nop 1
	v_xor_b32_e32 v10, vcc_lo, v10
	v_xor_b32_e32 v8, vcc_hi, v11
	v_and_b32_e32 v48, exec_lo, v10
	v_lshlrev_b32_e32 v11, 30, v47
	v_mov_b32_e32 v10, v9
	v_cmp_gt_i64_e32 vcc, 0, v[10:11]
	v_not_b32_e32 v10, v11
	v_ashrrev_i32_e32 v10, 31, v10
	v_and_b32_e32 v8, exec_hi, v8
	v_xor_b32_e32 v11, vcc_hi, v10
	v_xor_b32_e32 v10, vcc_lo, v10
	v_and_b32_e32 v8, v8, v11
	v_and_b32_e32 v48, v48, v10
	v_lshlrev_b32_e32 v11, 29, v47
	v_mov_b32_e32 v10, v9
	v_cmp_gt_i64_e32 vcc, 0, v[10:11]
	v_not_b32_e32 v10, v11
	v_ashrrev_i32_e32 v10, 31, v10
	v_xor_b32_e32 v11, vcc_hi, v10
	v_xor_b32_e32 v10, vcc_lo, v10
	v_and_b32_e32 v8, v8, v11
	v_and_b32_e32 v48, v48, v10
	v_lshlrev_b32_e32 v11, 28, v47
	v_mov_b32_e32 v10, v9
	v_cmp_gt_i64_e32 vcc, 0, v[10:11]
	v_not_b32_e32 v10, v11
	v_ashrrev_i32_e32 v10, 31, v10
	;; [unrolled: 9-line block ×3, first 2 shown]
	v_xor_b32_e32 v11, vcc_hi, v10
	v_xor_b32_e32 v10, vcc_lo, v10
	ds_read_b32 v45, v49 offset:32
	v_and_b32_e32 v10, v48, v10
	v_and_b32_e32 v11, v8, v11
	v_mbcnt_lo_u32_b32 v8, v10, 0
	v_mbcnt_hi_u32_b32 v47, v11, v8
	v_cmp_eq_u32_e32 vcc, 0, v47
	v_cmp_ne_u64_e64 s[0:1], 0, v[10:11]
	s_and_b64 s[4:5], s[0:1], vcc
	; wave barrier
	s_and_saveexec_b64 s[0:1], s[4:5]
	s_cbranch_execz .LBB15_187
; %bb.186:
	v_bcnt_u32_b32 v8, v10, 0
	v_bcnt_u32_b32 v8, v11, v8
	s_waitcnt lgkmcnt(0)
	v_add_u32_e32 v8, v45, v8
	ds_write_b32 v49, v8 offset:32
.LBB15_187:
	s_or_b64 exec, exec, s[0:1]
	s_waitcnt vmcnt(2)
	v_xor_b32_e32 v30, 0x7fffffff, v30
	v_lshrrev_b32_e32 v8, s68, v30
	v_and_b32_e32 v50, s14, v8
	v_mul_lo_u32 v8, v50, 36
	v_lshl_add_u32 v53, v25, 2, v8
	v_and_b32_e32 v8, 1, v50
	v_lshl_add_u64 v[10:11], v[8:9], 0, -1
	v_cmp_ne_u32_e32 vcc, 0, v8
	; wave barrier
	s_nop 1
	v_xor_b32_e32 v10, vcc_lo, v10
	v_xor_b32_e32 v8, vcc_hi, v11
	v_and_b32_e32 v51, exec_lo, v10
	v_lshlrev_b32_e32 v11, 30, v50
	v_mov_b32_e32 v10, v9
	v_cmp_gt_i64_e32 vcc, 0, v[10:11]
	v_not_b32_e32 v10, v11
	v_ashrrev_i32_e32 v10, 31, v10
	v_and_b32_e32 v8, exec_hi, v8
	v_xor_b32_e32 v11, vcc_hi, v10
	v_xor_b32_e32 v10, vcc_lo, v10
	v_and_b32_e32 v8, v8, v11
	v_and_b32_e32 v51, v51, v10
	v_lshlrev_b32_e32 v11, 29, v50
	v_mov_b32_e32 v10, v9
	v_cmp_gt_i64_e32 vcc, 0, v[10:11]
	v_not_b32_e32 v10, v11
	v_ashrrev_i32_e32 v10, 31, v10
	v_xor_b32_e32 v11, vcc_hi, v10
	v_xor_b32_e32 v10, vcc_lo, v10
	v_and_b32_e32 v8, v8, v11
	v_and_b32_e32 v51, v51, v10
	v_lshlrev_b32_e32 v11, 28, v50
	v_mov_b32_e32 v10, v9
	v_cmp_gt_i64_e32 vcc, 0, v[10:11]
	v_not_b32_e32 v10, v11
	v_ashrrev_i32_e32 v10, 31, v10
	v_xor_b32_e32 v11, vcc_hi, v10
	v_xor_b32_e32 v10, vcc_lo, v10
	v_and_b32_e32 v8, v8, v11
	v_lshlrev_b32_e32 v11, 27, v50
	v_and_b32_e32 v51, v51, v10
	v_mov_b32_e32 v10, v9
	v_not_b32_e32 v9, v11
	v_cmp_gt_i64_e32 vcc, 0, v[10:11]
	v_ashrrev_i32_e32 v9, 31, v9
	ds_read_b32 v48, v53 offset:32
	v_xor_b32_e32 v10, vcc_hi, v9
	v_xor_b32_e32 v11, vcc_lo, v9
	v_and_b32_e32 v9, v8, v10
	v_and_b32_e32 v8, v51, v11
	v_mbcnt_lo_u32_b32 v10, v8, 0
	v_mbcnt_hi_u32_b32 v50, v9, v10
	v_cmp_eq_u32_e32 vcc, 0, v50
	v_cmp_ne_u64_e64 s[0:1], 0, v[8:9]
	s_and_b64 s[4:5], s[0:1], vcc
	; wave barrier
	s_and_saveexec_b64 s[0:1], s[4:5]
	s_cbranch_execz .LBB15_189
; %bb.188:
	v_bcnt_u32_b32 v8, v8, 0
	v_bcnt_u32_b32 v8, v9, v8
	s_waitcnt lgkmcnt(0)
	v_add_u32_e32 v8, v48, v8
	ds_write_b32 v53, v8 offset:32
.LBB15_189:
	s_or_b64 exec, exec, s[0:1]
	s_waitcnt vmcnt(1)
	v_xor_b32_e32 v51, 0x7fffffff, v24
	v_lshrrev_b32_e32 v8, s68, v51
	v_and_b32_e32 v54, s14, v8
	v_mul_lo_u32 v8, v54, 36
	v_lshl_add_u32 v24, v25, 2, v8
	v_and_b32_e32 v8, 1, v54
	v_mov_b32_e32 v9, 0
	v_lshl_add_u64 v[10:11], v[8:9], 0, -1
	v_cmp_ne_u32_e32 vcc, 0, v8
	; wave barrier
	s_nop 1
	v_xor_b32_e32 v10, vcc_lo, v10
	v_xor_b32_e32 v8, vcc_hi, v11
	v_and_b32_e32 v55, exec_lo, v10
	v_lshlrev_b32_e32 v11, 30, v54
	v_mov_b32_e32 v10, v9
	v_cmp_gt_i64_e32 vcc, 0, v[10:11]
	v_not_b32_e32 v10, v11
	v_ashrrev_i32_e32 v10, 31, v10
	v_and_b32_e32 v8, exec_hi, v8
	v_xor_b32_e32 v11, vcc_hi, v10
	v_xor_b32_e32 v10, vcc_lo, v10
	v_and_b32_e32 v8, v8, v11
	v_and_b32_e32 v55, v55, v10
	v_lshlrev_b32_e32 v11, 29, v54
	v_mov_b32_e32 v10, v9
	v_cmp_gt_i64_e32 vcc, 0, v[10:11]
	v_not_b32_e32 v10, v11
	v_ashrrev_i32_e32 v10, 31, v10
	v_xor_b32_e32 v11, vcc_hi, v10
	v_xor_b32_e32 v10, vcc_lo, v10
	v_and_b32_e32 v8, v8, v11
	v_and_b32_e32 v55, v55, v10
	v_lshlrev_b32_e32 v11, 28, v54
	v_mov_b32_e32 v10, v9
	v_cmp_gt_i64_e32 vcc, 0, v[10:11]
	v_not_b32_e32 v10, v11
	v_ashrrev_i32_e32 v10, 31, v10
	;; [unrolled: 9-line block ×3, first 2 shown]
	v_xor_b32_e32 v11, vcc_hi, v10
	v_xor_b32_e32 v10, vcc_lo, v10
	ds_read_b32 v52, v24 offset:32
	v_and_b32_e32 v10, v55, v10
	v_and_b32_e32 v11, v8, v11
	v_mbcnt_lo_u32_b32 v8, v10, 0
	v_mbcnt_hi_u32_b32 v54, v11, v8
	v_cmp_eq_u32_e32 vcc, 0, v54
	v_cmp_ne_u64_e64 s[0:1], 0, v[10:11]
	s_and_b64 s[4:5], s[0:1], vcc
	; wave barrier
	s_and_saveexec_b64 s[0:1], s[4:5]
	s_cbranch_execz .LBB15_191
; %bb.190:
	v_bcnt_u32_b32 v8, v10, 0
	v_bcnt_u32_b32 v8, v11, v8
	s_waitcnt lgkmcnt(0)
	v_add_u32_e32 v8, v52, v8
	ds_write_b32 v24, v8 offset:32
.LBB15_191:
	s_or_b64 exec, exec, s[0:1]
	s_waitcnt vmcnt(0)
	v_xor_b32_e32 v55, 0x7fffffff, v19
	v_lshrrev_b32_e32 v8, s68, v55
	v_and_b32_e32 v11, s14, v8
	v_mul_lo_u32 v8, v11, 36
	v_lshl_add_u32 v10, v25, 2, v8
	v_and_b32_e32 v8, 1, v11
	v_lshl_add_u64 v[58:59], v[8:9], 0, -1
	v_cmp_ne_u32_e32 vcc, 0, v8
	; wave barrier
	s_nop 1
	v_xor_b32_e32 v8, vcc_hi, v59
	v_lshlrev_b32_e32 v59, 30, v11
	v_xor_b32_e32 v19, vcc_lo, v58
	v_mov_b32_e32 v58, v9
	v_not_b32_e32 v25, v59
	v_cmp_gt_i64_e32 vcc, 0, v[58:59]
	v_ashrrev_i32_e32 v25, 31, v25
	v_and_b32_e32 v19, exec_lo, v19
	v_xor_b32_e32 v57, vcc_hi, v25
	v_xor_b32_e32 v25, vcc_lo, v25
	v_lshlrev_b32_e32 v59, 29, v11
	v_and_b32_e32 v19, v19, v25
	v_not_b32_e32 v25, v59
	v_and_b32_e32 v8, exec_hi, v8
	v_cmp_gt_i64_e32 vcc, 0, v[58:59]
	v_ashrrev_i32_e32 v25, 31, v25
	v_and_b32_e32 v8, v8, v57
	v_xor_b32_e32 v57, vcc_hi, v25
	v_xor_b32_e32 v25, vcc_lo, v25
	v_lshlrev_b32_e32 v59, 28, v11
	v_and_b32_e32 v19, v19, v25
	v_cmp_gt_i64_e32 vcc, 0, v[58:59]
	v_not_b32_e32 v25, v59
	v_lshlrev_b32_e32 v59, 27, v11
	v_ashrrev_i32_e32 v25, 31, v25
	v_not_b32_e32 v9, v59
	v_and_b32_e32 v8, v8, v57
	v_xor_b32_e32 v57, vcc_hi, v25
	v_xor_b32_e32 v25, vcc_lo, v25
	v_cmp_gt_i64_e32 vcc, 0, v[58:59]
	v_ashrrev_i32_e32 v9, 31, v9
	v_and_b32_e32 v8, v8, v57
	v_and_b32_e32 v19, v19, v25
	v_xor_b32_e32 v11, vcc_hi, v9
	v_xor_b32_e32 v25, vcc_lo, v9
	ds_read_b32 v56, v10 offset:32
	v_and_b32_e32 v9, v8, v11
	v_and_b32_e32 v8, v19, v25
	v_mbcnt_lo_u32_b32 v11, v8, 0
	v_mbcnt_hi_u32_b32 v57, v9, v11
	v_cmp_eq_u32_e32 vcc, 0, v57
	v_cmp_ne_u64_e64 s[0:1], 0, v[8:9]
	s_and_b64 s[4:5], s[0:1], vcc
	; wave barrier
	s_and_saveexec_b64 s[0:1], s[4:5]
	s_cbranch_execz .LBB15_193
; %bb.192:
	v_bcnt_u32_b32 v8, v8, 0
	v_bcnt_u32_b32 v8, v9, v8
	s_waitcnt lgkmcnt(0)
	v_add_u32_e32 v8, v56, v8
	ds_write_b32 v10, v8 offset:32
.LBB15_193:
	s_or_b64 exec, exec, s[0:1]
	; wave barrier
	s_waitcnt lgkmcnt(0)
	s_barrier
	ds_read_b32 v8, v0 offset:32
	v_and_b32_e32 v9, 15, v1
	v_cmp_ne_u32_e32 vcc, 0, v9
	v_min_u32_e32 v7, 0x1c0, v7
	v_or_b32_e32 v7, 63, v7
	s_waitcnt lgkmcnt(0)
	v_mov_b32_dpp v11, v8 row_shr:1 row_mask:0xf bank_mask:0xf
	v_cndmask_b32_e32 v11, 0, v11, vcc
	v_add_u32_e32 v8, v11, v8
	v_cmp_lt_u32_e32 vcc, 1, v9
	s_nop 0
	v_mov_b32_dpp v11, v8 row_shr:2 row_mask:0xf bank_mask:0xf
	v_cndmask_b32_e32 v11, 0, v11, vcc
	v_add_u32_e32 v8, v8, v11
	v_cmp_lt_u32_e32 vcc, 3, v9
	s_nop 0
	;; [unrolled: 5-line block ×3, first 2 shown]
	v_mov_b32_dpp v11, v8 row_shr:8 row_mask:0xf bank_mask:0xf
	v_cndmask_b32_e32 v9, 0, v11, vcc
	v_add_u32_e32 v8, v8, v9
	v_bfe_i32 v11, v1, 4, 1
	v_cmp_lt_u32_e32 vcc, 31, v1
	v_mov_b32_dpp v9, v8 row_bcast:15 row_mask:0xf bank_mask:0xf
	v_and_b32_e32 v9, v11, v9
	v_add_u32_e32 v8, v8, v9
	s_nop 1
	v_mov_b32_dpp v9, v8 row_bcast:31 row_mask:0xf bank_mask:0xf
	v_cndmask_b32_e32 v9, 0, v9, vcc
	v_add_u32_e32 v8, v8, v9
	v_lshrrev_b32_e32 v9, 6, v6
	v_cmp_eq_u32_e32 vcc, v6, v7
	s_and_saveexec_b64 s[0:1], vcc
; %bb.194:
	v_lshlrev_b32_e32 v7, 2, v9
	ds_write_b32 v7, v8
; %bb.195:
	s_or_b64 exec, exec, s[0:1]
	v_cmp_gt_u32_e32 vcc, 8, v6
	s_waitcnt lgkmcnt(0)
	s_barrier
	s_and_saveexec_b64 s[0:1], vcc
	s_cbranch_execz .LBB15_197
; %bb.196:
	ds_read_b32 v7, v0
	v_and_b32_e32 v11, 7, v1
	v_cmp_ne_u32_e32 vcc, 0, v11
	s_waitcnt lgkmcnt(0)
	v_mov_b32_dpp v19, v7 row_shr:1 row_mask:0xf bank_mask:0xf
	v_cndmask_b32_e32 v19, 0, v19, vcc
	v_add_u32_e32 v7, v19, v7
	v_cmp_lt_u32_e32 vcc, 1, v11
	s_nop 0
	v_mov_b32_dpp v19, v7 row_shr:2 row_mask:0xf bank_mask:0xf
	v_cndmask_b32_e32 v19, 0, v19, vcc
	v_add_u32_e32 v7, v7, v19
	v_cmp_lt_u32_e32 vcc, 3, v11
	s_nop 0
	v_mov_b32_dpp v19, v7 row_shr:4 row_mask:0xf bank_mask:0xf
	v_cndmask_b32_e32 v11, 0, v19, vcc
	v_add_u32_e32 v7, v7, v11
	ds_write_b32 v0, v7
.LBB15_197:
	s_or_b64 exec, exec, s[0:1]
	v_cmp_lt_u32_e32 vcc, 63, v6
	v_mov_b32_e32 v7, 0
	s_waitcnt lgkmcnt(0)
	s_barrier
	s_and_saveexec_b64 s[0:1], vcc
; %bb.198:
	v_lshl_add_u32 v7, v9, 2, -4
	ds_read_b32 v7, v7
; %bb.199:
	s_or_b64 exec, exec, s[0:1]
	v_add_u32_e32 v9, -1, v1
	v_and_b32_e32 v11, 64, v1
	v_cmp_lt_i32_e32 vcc, v9, v11
	s_waitcnt lgkmcnt(0)
	v_add_u32_e32 v8, v7, v8
	v_cmp_gt_u32_e64 s[0:1], 32, v6
	v_cndmask_b32_e32 v9, v9, v1, vcc
	v_lshlrev_b32_e32 v9, 2, v9
	ds_bpermute_b32 v8, v9, v8
	v_cmp_eq_u32_e32 vcc, 0, v1
	s_waitcnt lgkmcnt(0)
	s_nop 0
	v_cndmask_b32_e32 v1, v8, v7, vcc
	ds_write_b32 v0, v1 offset:32
	s_waitcnt lgkmcnt(0)
	s_barrier
	ds_read_b32 v11, v14 offset:32
	ds_read_b32 v19, v16 offset:32
	;; [unrolled: 1-line block ×12, first 2 shown]
	v_cmp_lt_u32_e32 vcc, 31, v6
	v_mov_b64_e32 v[8:9], 0
                                        ; implicit-def: $vgpr10
	s_and_saveexec_b64 s[6:7], s[0:1]
	s_cbranch_execz .LBB15_203
; %bb.200:
	v_mul_u32_u24_e32 v8, 36, v6
	ds_read_b32 v8, v8 offset:32
	v_add_u32_e32 v10, 1, v6
	v_cmp_ne_u32_e64 s[4:5], 32, v10
	v_mov_b32_e32 v9, 0x1800
	s_and_saveexec_b64 s[8:9], s[4:5]
; %bb.201:
	v_mul_u32_u24_e32 v9, 36, v10
	ds_read_b32 v9, v9 offset:32
; %bb.202:
	s_or_b64 exec, exec, s[8:9]
	s_waitcnt lgkmcnt(0)
	v_sub_u32_e32 v10, v9, v8
	v_mov_b32_e32 v9, 0
.LBB15_203:
	s_or_b64 exec, exec, s[6:7]
	v_lshlrev_b32_e32 v5, 2, v5
	s_waitcnt lgkmcnt(11)
	v_lshl_add_u32 v11, v11, 2, v5
	s_waitcnt lgkmcnt(0)
	s_barrier
	ds_write_b32 v11, v3 offset:256
	v_lshlrev_b32_e32 v3, 2, v19
	v_lshlrev_b32_e32 v5, 2, v15
	;; [unrolled: 1-line block ×3, first 2 shown]
	v_add3_u32 v19, v3, v5, v13
	ds_write_b32 v19, v12 offset:256
	v_lshlrev_b32_e32 v3, 2, v59
	v_lshlrev_b32_e32 v5, 2, v20
	;; [unrolled: 1-line block ×3, first 2 shown]
	v_add3_u32 v18, v3, v5, v12
	v_lshlrev_b32_e32 v3, 2, v58
	v_lshlrev_b32_e32 v5, 2, v26
	v_lshlrev_b32_e32 v12, 2, v23
	v_add3_u32 v20, v3, v5, v12
	v_lshlrev_b32_e32 v3, 2, v33
	v_lshlrev_b32_e32 v5, 2, v31
	;; [unrolled: 1-line block ×3, first 2 shown]
	ds_write_b32 v18, v17 offset:256
	ds_write_b32 v20, v21 offset:256
	v_add3_u32 v21, v3, v5, v12
	v_lshlrev_b32_e32 v3, 2, v22
	v_lshlrev_b32_e32 v5, 2, v36
	v_lshlrev_b32_e32 v12, 2, v34
	v_add3_u32 v22, v3, v5, v12
	v_lshlrev_b32_e32 v3, 2, v28
	v_lshlrev_b32_e32 v5, 2, v41
	v_lshlrev_b32_e32 v12, 2, v38
	;; [unrolled: 4-line block ×6, first 2 shown]
	ds_write_b32 v21, v27 offset:256
	v_add3_u32 v27, v3, v5, v7
	v_lshlrev_b32_e32 v1, 2, v1
	v_lshlrev_b32_e32 v3, 2, v57
	;; [unrolled: 1-line block ×3, first 2 shown]
	v_add3_u32 v28, v1, v3, v5
	v_lshlrev_b32_e32 v7, 3, v6
	ds_write_b32 v22, v32 offset:256
	ds_write_b32 v23, v37 offset:256
	;; [unrolled: 1-line block ×7, first 2 shown]
	s_waitcnt lgkmcnt(0)
	s_barrier
	s_and_saveexec_b64 s[4:5], s[0:1]
	s_cbranch_execz .LBB15_213
; %bb.204:
	v_lshl_add_u32 v14, s2, 5, v6
	v_mov_b32_e32 v15, 0
	v_lshl_add_u64 v[12:13], v[14:15], 2, s[54:55]
	v_or_b32_e32 v1, 2.0, v10
	global_store_dword v[12:13], v1, off sc1
	s_mov_b64 s[6:7], 0
	s_brev_b32 s15, -4
	s_mov_b32 s16, s2
	v_mov_b32_e32 v1, 0
                                        ; implicit-def: $sgpr0_sgpr1
	s_branch .LBB15_207
.LBB15_205:                             ;   in Loop: Header=BB15_207 Depth=1
	s_or_b64 exec, exec, s[12:13]
.LBB15_206:                             ;   in Loop: Header=BB15_207 Depth=1
	s_or_b64 exec, exec, s[8:9]
	v_and_b32_e32 v5, 0x3fffffff, v3
	v_add_u32_e32 v1, v5, v1
	v_cmp_gt_i32_e64 s[0:1], -2.0, v3
	s_and_b64 s[8:9], exec, s[0:1]
	s_or_b64 s[6:7], s[8:9], s[6:7]
	s_andn2_b64 exec, exec, s[6:7]
	s_cbranch_execz .LBB15_212
.LBB15_207:                             ; =>This Loop Header: Depth=1
                                        ;     Child Loop BB15_210 Depth 2
	s_or_b64 s[0:1], s[0:1], exec
	s_cmp_eq_u32 s16, 0
	s_cbranch_scc1 .LBB15_211
; %bb.208:                              ;   in Loop: Header=BB15_207 Depth=1
	s_add_i32 s16, s16, -1
	v_lshl_or_b32 v14, s16, 5, v6
	v_lshl_add_u64 v[16:17], v[14:15], 2, s[54:55]
	global_load_dword v3, v[16:17], off sc1
	s_waitcnt vmcnt(0)
	v_cmp_gt_u32_e64 s[0:1], 2.0, v3
	s_and_saveexec_b64 s[8:9], s[0:1]
	s_cbranch_execz .LBB15_206
; %bb.209:                              ;   in Loop: Header=BB15_207 Depth=1
	s_mov_b64 s[12:13], 0
.LBB15_210:                             ;   Parent Loop BB15_207 Depth=1
                                        ; =>  This Inner Loop Header: Depth=2
	global_load_dword v3, v[16:17], off sc1
	s_waitcnt vmcnt(0)
	v_cmp_lt_u32_e64 s[0:1], s15, v3
	s_or_b64 s[12:13], s[0:1], s[12:13]
	s_andn2_b64 exec, exec, s[12:13]
	s_cbranch_execnz .LBB15_210
	s_branch .LBB15_205
.LBB15_211:                             ;   in Loop: Header=BB15_207 Depth=1
                                        ; implicit-def: $sgpr16
	s_and_b64 s[8:9], exec, s[0:1]
	s_or_b64 s[6:7], s[8:9], s[6:7]
	s_andn2_b64 exec, exec, s[6:7]
	s_cbranch_execnz .LBB15_207
.LBB15_212:
	s_or_b64 exec, exec, s[6:7]
	v_add_u32_e32 v3, v1, v10
	v_or_b32_e32 v3, 0x80000000, v3
	global_store_dword v[12:13], v3, off sc1
	global_load_dwordx2 v[12:13], v7, s[64:65]
	v_sub_co_u32_e64 v14, s[0:1], v1, v8
	s_nop 1
	v_subb_co_u32_e64 v15, s[0:1], 0, v9, s[0:1]
	s_waitcnt vmcnt(0)
	v_lshl_add_u64 v[12:13], v[14:15], 0, v[12:13]
	ds_write_b64 v7, v[12:13]
.LBB15_213:
	s_or_b64 exec, exec, s[4:5]
	v_sub_u32_e32 v6, v7, v0
	s_waitcnt lgkmcnt(0)
	s_barrier
	ds_read2st64_b32 v[12:13], v6 offset0:1 offset1:9
	v_or_b32_e32 v40, 0x2000, v0
	v_or_b32_e32 v48, 0x4000, v0
	s_add_u32 s0, s60, s10
	s_addc_u32 s1, s61, s11
	s_waitcnt lgkmcnt(0)
	v_lshrrev_b32_e32 v1, s68, v12
	v_and_b32_e32 v1, s14, v1
	v_lshlrev_b32_e32 v29, 3, v1
	ds_read2st64_b32 v[14:15], v6 offset0:17 offset1:25
	ds_read_b64 v[16:17], v29
	v_lshrrev_b32_e32 v1, s68, v13
	v_and_b32_e32 v1, s14, v1
	v_lshlrev_b32_e32 v50, 3, v1
	s_waitcnt lgkmcnt(1)
	v_lshrrev_b32_e32 v1, s68, v14
	v_and_b32_e32 v1, s14, v1
	v_lshlrev_b32_e32 v51, 3, v1
	v_lshrrev_b32_e32 v1, s68, v15
	v_and_b32_e32 v1, s14, v1
	v_lshlrev_b32_e32 v52, 3, v1
	ds_read_b64 v[30:31], v50
	ds_read_b64 v[32:33], v51
	;; [unrolled: 1-line block ×3, first 2 shown]
	s_waitcnt lgkmcnt(3)
	v_lshl_add_u64 v[16:17], v[16:17], 2, s[58:59]
	v_mov_b32_e32 v1, 0
	v_xor_b32_e32 v3, 0x7fffffff, v12
	v_lshl_add_u64 v[16:17], v[16:17], 0, v[0:1]
	global_store_dword v[16:17], v3, off
	v_xor_b32_e32 v3, 0x7fffffff, v13
	s_waitcnt lgkmcnt(2)
	v_lshl_add_u64 v[12:13], v[30:31], 2, s[58:59]
	v_lshl_add_u64 v[12:13], v[12:13], 0, v[0:1]
	global_store_dword v[12:13], v3, off offset:2048
	s_waitcnt lgkmcnt(1)
	v_lshl_add_u64 v[12:13], v[32:33], 2, s[58:59]
	v_or_b32_e32 v16, 0x1000, v0
	v_mov_b32_e32 v17, v1
	v_xor_b32_e32 v3, 0x7fffffff, v14
	v_lshl_add_u64 v[12:13], v[12:13], 0, v[16:17]
	global_store_dword v[12:13], v3, off
	v_xor_b32_e32 v3, 0x7fffffff, v15
	ds_read2st64_b32 v[14:15], v6 offset0:33 offset1:41
	s_waitcnt lgkmcnt(1)
	v_lshl_add_u64 v[12:13], v[34:35], 2, s[58:59]
	v_add_u32_e32 v30, 0x1800, v0
	v_mov_b32_e32 v31, v1
	v_lshl_add_u64 v[12:13], v[12:13], 0, v[30:31]
	global_store_dword v[12:13], v3, off
	s_waitcnt lgkmcnt(0)
	v_lshrrev_b32_e32 v3, s68, v14
	v_and_b32_e32 v3, s14, v3
	v_lshlrev_b32_e32 v53, 3, v3
	ds_read2st64_b32 v[12:13], v6 offset0:49 offset1:57
	ds_read_b64 v[32:33], v53
	v_lshrrev_b32_e32 v3, s68, v15
	v_and_b32_e32 v3, s14, v3
	v_lshlrev_b32_e32 v54, 3, v3
	s_waitcnt lgkmcnt(1)
	v_lshrrev_b32_e32 v3, s68, v12
	v_and_b32_e32 v3, s14, v3
	v_lshlrev_b32_e32 v55, 3, v3
	v_lshrrev_b32_e32 v3, s68, v13
	v_and_b32_e32 v3, s14, v3
	v_lshlrev_b32_e32 v56, 3, v3
	ds_read_b64 v[34:35], v54
	ds_read_b64 v[36:37], v55
	;; [unrolled: 1-line block ×3, first 2 shown]
	s_waitcnt lgkmcnt(3)
	v_lshl_add_u64 v[32:33], v[32:33], 2, s[58:59]
	v_mov_b32_e32 v41, v1
	v_xor_b32_e32 v5, 0x7fffffff, v14
	v_lshl_add_u64 v[32:33], v[32:33], 0, v[40:41]
	global_store_dword v[32:33], v5, off
	v_xor_b32_e32 v3, 0x7fffffff, v15
	s_waitcnt lgkmcnt(2)
	v_lshl_add_u64 v[14:15], v[34:35], 2, s[58:59]
	v_add_u32_e32 v32, 0x2800, v0
	v_mov_b32_e32 v33, v1
	v_lshl_add_u64 v[14:15], v[14:15], 0, v[32:33]
	global_store_dword v[14:15], v3, off
	s_waitcnt lgkmcnt(1)
	v_lshl_add_u64 v[14:15], v[36:37], 2, s[58:59]
	v_or_b32_e32 v34, 0x3000, v0
	v_mov_b32_e32 v35, v1
	v_xor_b32_e32 v3, 0x7fffffff, v12
	v_lshl_add_u64 v[14:15], v[14:15], 0, v[34:35]
	global_store_dword v[14:15], v3, off
	ds_read2st64_b32 v[14:15], v6 offset0:65 offset1:73
	v_xor_b32_e32 v3, 0x7fffffff, v13
	s_waitcnt lgkmcnt(1)
	v_lshl_add_u64 v[12:13], v[38:39], 2, s[58:59]
	v_add_u32_e32 v36, 0x3800, v0
	v_mov_b32_e32 v37, v1
	v_lshl_add_u64 v[12:13], v[12:13], 0, v[36:37]
	global_store_dword v[12:13], v3, off
	s_waitcnt lgkmcnt(0)
	v_lshrrev_b32_e32 v3, s68, v14
	v_and_b32_e32 v3, s14, v3
	v_lshlrev_b32_e32 v57, 3, v3
	ds_read2st64_b32 v[12:13], v6 offset0:81 offset1:89
	ds_read_b64 v[38:39], v57
	v_lshrrev_b32_e32 v3, s68, v15
	v_and_b32_e32 v3, s14, v3
	v_lshlrev_b32_e32 v58, 3, v3
	s_waitcnt lgkmcnt(1)
	v_lshrrev_b32_e32 v3, s68, v12
	v_and_b32_e32 v3, s14, v3
	v_lshlrev_b32_e32 v59, 3, v3
	v_lshrrev_b32_e32 v3, s68, v13
	v_and_b32_e32 v3, s14, v3
	v_lshlrev_b32_e32 v60, 3, v3
	ds_read_b64 v[42:43], v58
	ds_read_b64 v[44:45], v59
	;; [unrolled: 1-line block ×3, first 2 shown]
	s_waitcnt lgkmcnt(3)
	v_lshl_add_u64 v[38:39], v[38:39], 2, s[58:59]
	v_mov_b32_e32 v49, v1
	v_xor_b32_e32 v5, 0x7fffffff, v14
	v_lshl_add_u64 v[38:39], v[38:39], 0, v[48:49]
	global_store_dword v[38:39], v5, off
	v_xor_b32_e32 v3, 0x7fffffff, v15
	s_waitcnt lgkmcnt(2)
	v_lshl_add_u64 v[14:15], v[42:43], 2, s[58:59]
	v_add_u32_e32 v38, 0x4800, v0
	v_mov_b32_e32 v39, v1
	v_lshl_add_u64 v[14:15], v[14:15], 0, v[38:39]
	global_store_dword v[14:15], v3, off
	s_waitcnt lgkmcnt(1)
	v_lshl_add_u64 v[14:15], v[44:45], 2, s[58:59]
	v_or_b32_e32 v42, 0x5000, v0
	v_mov_b32_e32 v43, v1
	v_lshl_add_u64 v[14:15], v[14:15], 0, v[42:43]
	v_xor_b32_e32 v3, 0x7fffffff, v12
	global_store_dword v[14:15], v3, off
	v_xor_b32_e32 v3, 0x7fffffff, v13
	s_waitcnt lgkmcnt(0)
	v_lshl_add_u64 v[12:13], v[46:47], 2, s[58:59]
	v_add_u32_e32 v14, 0x5800, v0
	v_mov_b32_e32 v15, v1
	v_lshl_add_u64 v[12:13], v[12:13], 0, v[14:15]
	global_store_dword v[12:13], v3, off
	v_mov_b32_e32 v3, v1
	v_lshl_add_u64 v[2:3], s[0:1], 0, v[2:3]
	v_mov_b32_e32 v5, v1
	v_lshl_add_u64 v[2:3], v[2:3], 0, v[4:5]
	global_load_dword v4, v[2:3], off
	global_load_dword v5, v[2:3], off offset:256
	global_load_dword v12, v[2:3], off offset:512
	;; [unrolled: 1-line block ×11, first 2 shown]
	s_barrier
	s_add_i32 s3, s3, -1
	s_cmp_eq_u32 s2, s3
	s_cselect_b64 s[0:1], -1, 0
	s_xor_b64 s[2:3], vcc, -1
	s_and_b64 s[0:1], s[2:3], s[0:1]
	s_waitcnt vmcnt(11)
	ds_write_b32 v11, v4 offset:256
	s_waitcnt vmcnt(10)
	ds_write_b32 v19, v5 offset:256
	;; [unrolled: 2-line block ×12, first 2 shown]
	s_waitcnt lgkmcnt(0)
	s_barrier
	ds_read_b64 v[2:3], v29
	ds_read2st64_b32 v[4:5], v6 offset0:1 offset1:9
	ds_read_b64 v[12:13], v50
	ds_read_b64 v[18:19], v51
	;; [unrolled: 1-line block ×3, first 2 shown]
	s_waitcnt lgkmcnt(4)
	v_lshl_add_u64 v[2:3], v[2:3], 2, s[62:63]
	v_lshl_add_u64 v[2:3], v[2:3], 0, v[0:1]
	s_waitcnt lgkmcnt(3)
	global_store_dword v[2:3], v4, off
	s_waitcnt lgkmcnt(2)
	v_lshl_add_u64 v[2:3], v[12:13], 2, s[62:63]
	ds_read2st64_b32 v[12:13], v6 offset0:17 offset1:25
	v_lshl_add_u64 v[2:3], v[2:3], 0, v[0:1]
	global_store_dword v[2:3], v5, off offset:2048
	s_waitcnt lgkmcnt(2)
	v_lshl_add_u64 v[2:3], v[18:19], 2, s[62:63]
	v_lshl_add_u64 v[2:3], v[2:3], 0, v[16:17]
	s_waitcnt lgkmcnt(0)
	global_store_dword v[2:3], v12, off
	v_lshl_add_u64 v[2:3], v[20:21], 2, s[62:63]
	v_lshl_add_u64 v[2:3], v[2:3], 0, v[30:31]
	global_store_dword v[2:3], v13, off
	ds_read_b64 v[2:3], v53
	ds_read2st64_b32 v[4:5], v6 offset0:33 offset1:41
	ds_read_b64 v[12:13], v54
	ds_read_b64 v[16:17], v55
	;; [unrolled: 1-line block ×3, first 2 shown]
	s_waitcnt lgkmcnt(4)
	v_lshl_add_u64 v[2:3], v[2:3], 2, s[62:63]
	v_lshl_add_u64 v[2:3], v[2:3], 0, v[40:41]
	s_waitcnt lgkmcnt(3)
	global_store_dword v[2:3], v4, off
	s_waitcnt lgkmcnt(2)
	v_lshl_add_u64 v[2:3], v[12:13], 2, s[62:63]
	ds_read2st64_b32 v[12:13], v6 offset0:49 offset1:57
	v_lshl_add_u64 v[2:3], v[2:3], 0, v[32:33]
	global_store_dword v[2:3], v5, off
	s_waitcnt lgkmcnt(2)
	v_lshl_add_u64 v[2:3], v[16:17], 2, s[62:63]
	v_lshl_add_u64 v[2:3], v[2:3], 0, v[34:35]
	s_waitcnt lgkmcnt(0)
	global_store_dword v[2:3], v12, off
	v_lshl_add_u64 v[2:3], v[18:19], 2, s[62:63]
	v_lshl_add_u64 v[2:3], v[2:3], 0, v[36:37]
	global_store_dword v[2:3], v13, off
	ds_read_b64 v[2:3], v57
	ds_read2st64_b32 v[4:5], v6 offset0:65 offset1:73
	ds_read_b64 v[12:13], v58
	ds_read_b64 v[16:17], v59
	;; [unrolled: 1-line block ×3, first 2 shown]
	s_waitcnt lgkmcnt(4)
	v_lshl_add_u64 v[2:3], v[2:3], 2, s[62:63]
	v_lshl_add_u64 v[2:3], v[2:3], 0, v[48:49]
	s_waitcnt lgkmcnt(3)
	global_store_dword v[2:3], v4, off
	s_waitcnt lgkmcnt(2)
	v_lshl_add_u64 v[2:3], v[12:13], 2, s[62:63]
	ds_read2st64_b32 v[12:13], v6 offset0:81 offset1:89
	v_lshl_add_u64 v[2:3], v[2:3], 0, v[38:39]
	global_store_dword v[2:3], v5, off
	s_waitcnt lgkmcnt(2)
	v_lshl_add_u64 v[2:3], v[16:17], 2, s[62:63]
	v_lshl_add_u64 v[2:3], v[2:3], 0, v[42:43]
	s_waitcnt lgkmcnt(0)
	global_store_dword v[2:3], v12, off
	v_lshl_add_u64 v[2:3], v[18:19], 2, s[62:63]
	v_lshl_add_u64 v[2:3], v[2:3], 0, v[14:15]
	global_store_dword v[2:3], v13, off
	s_and_saveexec_b64 s[2:3], s[0:1]
	s_cbranch_execz .LBB15_215
; %bb.214:
	ds_read_b64 v[2:3], v7
	v_mov_b32_e32 v11, v1
	v_lshl_add_u64 v[0:1], v[8:9], 0, v[10:11]
	s_waitcnt lgkmcnt(0)
	v_lshl_add_u64 v[0:1], v[0:1], 0, v[2:3]
	global_store_dwordx2 v7, v[0:1], s[66:67]
.LBB15_215:
	s_endpgm
	.section	.rodata,"a",@progbits
	.p2align	6, 0x0
	.amdhsa_kernel _ZN7rocprim17ROCPRIM_304000_NS6detail25onesweep_iteration_kernelINS1_34wrapped_radix_sort_onesweep_configINS0_14default_configEiN2at4cuda3cub6detail10OpaqueTypeILi4EEEEELb1EPiSC_PSA_SD_mNS0_19identity_decomposerEEEvT1_T2_T3_T4_jPT5_SK_PNS1_23onesweep_lookback_stateET6_jjj
		.amdhsa_group_segment_fixed_size 24832
		.amdhsa_private_segment_fixed_size 0
		.amdhsa_kernarg_size 336
		.amdhsa_user_sgpr_count 2
		.amdhsa_user_sgpr_dispatch_ptr 0
		.amdhsa_user_sgpr_queue_ptr 0
		.amdhsa_user_sgpr_kernarg_segment_ptr 1
		.amdhsa_user_sgpr_dispatch_id 0
		.amdhsa_user_sgpr_kernarg_preload_length 0
		.amdhsa_user_sgpr_kernarg_preload_offset 0
		.amdhsa_user_sgpr_private_segment_size 0
		.amdhsa_uses_dynamic_stack 0
		.amdhsa_enable_private_segment 0
		.amdhsa_system_sgpr_workgroup_id_x 1
		.amdhsa_system_sgpr_workgroup_id_y 0
		.amdhsa_system_sgpr_workgroup_id_z 0
		.amdhsa_system_sgpr_workgroup_info 0
		.amdhsa_system_vgpr_workitem_id 2
		.amdhsa_next_free_vgpr 65
		.amdhsa_next_free_sgpr 76
		.amdhsa_accum_offset 68
		.amdhsa_reserve_vcc 1
		.amdhsa_float_round_mode_32 0
		.amdhsa_float_round_mode_16_64 0
		.amdhsa_float_denorm_mode_32 3
		.amdhsa_float_denorm_mode_16_64 3
		.amdhsa_dx10_clamp 1
		.amdhsa_ieee_mode 1
		.amdhsa_fp16_overflow 0
		.amdhsa_tg_split 0
		.amdhsa_exception_fp_ieee_invalid_op 0
		.amdhsa_exception_fp_denorm_src 0
		.amdhsa_exception_fp_ieee_div_zero 0
		.amdhsa_exception_fp_ieee_overflow 0
		.amdhsa_exception_fp_ieee_underflow 0
		.amdhsa_exception_fp_ieee_inexact 0
		.amdhsa_exception_int_div_zero 0
	.end_amdhsa_kernel
	.section	.text._ZN7rocprim17ROCPRIM_304000_NS6detail25onesweep_iteration_kernelINS1_34wrapped_radix_sort_onesweep_configINS0_14default_configEiN2at4cuda3cub6detail10OpaqueTypeILi4EEEEELb1EPiSC_PSA_SD_mNS0_19identity_decomposerEEEvT1_T2_T3_T4_jPT5_SK_PNS1_23onesweep_lookback_stateET6_jjj,"axG",@progbits,_ZN7rocprim17ROCPRIM_304000_NS6detail25onesweep_iteration_kernelINS1_34wrapped_radix_sort_onesweep_configINS0_14default_configEiN2at4cuda3cub6detail10OpaqueTypeILi4EEEEELb1EPiSC_PSA_SD_mNS0_19identity_decomposerEEEvT1_T2_T3_T4_jPT5_SK_PNS1_23onesweep_lookback_stateET6_jjj,comdat
.Lfunc_end15:
	.size	_ZN7rocprim17ROCPRIM_304000_NS6detail25onesweep_iteration_kernelINS1_34wrapped_radix_sort_onesweep_configINS0_14default_configEiN2at4cuda3cub6detail10OpaqueTypeILi4EEEEELb1EPiSC_PSA_SD_mNS0_19identity_decomposerEEEvT1_T2_T3_T4_jPT5_SK_PNS1_23onesweep_lookback_stateET6_jjj, .Lfunc_end15-_ZN7rocprim17ROCPRIM_304000_NS6detail25onesweep_iteration_kernelINS1_34wrapped_radix_sort_onesweep_configINS0_14default_configEiN2at4cuda3cub6detail10OpaqueTypeILi4EEEEELb1EPiSC_PSA_SD_mNS0_19identity_decomposerEEEvT1_T2_T3_T4_jPT5_SK_PNS1_23onesweep_lookback_stateET6_jjj
                                        ; -- End function
	.set _ZN7rocprim17ROCPRIM_304000_NS6detail25onesweep_iteration_kernelINS1_34wrapped_radix_sort_onesweep_configINS0_14default_configEiN2at4cuda3cub6detail10OpaqueTypeILi4EEEEELb1EPiSC_PSA_SD_mNS0_19identity_decomposerEEEvT1_T2_T3_T4_jPT5_SK_PNS1_23onesweep_lookback_stateET6_jjj.num_vgpr, 65
	.set _ZN7rocprim17ROCPRIM_304000_NS6detail25onesweep_iteration_kernelINS1_34wrapped_radix_sort_onesweep_configINS0_14default_configEiN2at4cuda3cub6detail10OpaqueTypeILi4EEEEELb1EPiSC_PSA_SD_mNS0_19identity_decomposerEEEvT1_T2_T3_T4_jPT5_SK_PNS1_23onesweep_lookback_stateET6_jjj.num_agpr, 0
	.set _ZN7rocprim17ROCPRIM_304000_NS6detail25onesweep_iteration_kernelINS1_34wrapped_radix_sort_onesweep_configINS0_14default_configEiN2at4cuda3cub6detail10OpaqueTypeILi4EEEEELb1EPiSC_PSA_SD_mNS0_19identity_decomposerEEEvT1_T2_T3_T4_jPT5_SK_PNS1_23onesweep_lookback_stateET6_jjj.numbered_sgpr, 76
	.set _ZN7rocprim17ROCPRIM_304000_NS6detail25onesweep_iteration_kernelINS1_34wrapped_radix_sort_onesweep_configINS0_14default_configEiN2at4cuda3cub6detail10OpaqueTypeILi4EEEEELb1EPiSC_PSA_SD_mNS0_19identity_decomposerEEEvT1_T2_T3_T4_jPT5_SK_PNS1_23onesweep_lookback_stateET6_jjj.num_named_barrier, 0
	.set _ZN7rocprim17ROCPRIM_304000_NS6detail25onesweep_iteration_kernelINS1_34wrapped_radix_sort_onesweep_configINS0_14default_configEiN2at4cuda3cub6detail10OpaqueTypeILi4EEEEELb1EPiSC_PSA_SD_mNS0_19identity_decomposerEEEvT1_T2_T3_T4_jPT5_SK_PNS1_23onesweep_lookback_stateET6_jjj.private_seg_size, 0
	.set _ZN7rocprim17ROCPRIM_304000_NS6detail25onesweep_iteration_kernelINS1_34wrapped_radix_sort_onesweep_configINS0_14default_configEiN2at4cuda3cub6detail10OpaqueTypeILi4EEEEELb1EPiSC_PSA_SD_mNS0_19identity_decomposerEEEvT1_T2_T3_T4_jPT5_SK_PNS1_23onesweep_lookback_stateET6_jjj.uses_vcc, 1
	.set _ZN7rocprim17ROCPRIM_304000_NS6detail25onesweep_iteration_kernelINS1_34wrapped_radix_sort_onesweep_configINS0_14default_configEiN2at4cuda3cub6detail10OpaqueTypeILi4EEEEELb1EPiSC_PSA_SD_mNS0_19identity_decomposerEEEvT1_T2_T3_T4_jPT5_SK_PNS1_23onesweep_lookback_stateET6_jjj.uses_flat_scratch, 0
	.set _ZN7rocprim17ROCPRIM_304000_NS6detail25onesweep_iteration_kernelINS1_34wrapped_radix_sort_onesweep_configINS0_14default_configEiN2at4cuda3cub6detail10OpaqueTypeILi4EEEEELb1EPiSC_PSA_SD_mNS0_19identity_decomposerEEEvT1_T2_T3_T4_jPT5_SK_PNS1_23onesweep_lookback_stateET6_jjj.has_dyn_sized_stack, 0
	.set _ZN7rocprim17ROCPRIM_304000_NS6detail25onesweep_iteration_kernelINS1_34wrapped_radix_sort_onesweep_configINS0_14default_configEiN2at4cuda3cub6detail10OpaqueTypeILi4EEEEELb1EPiSC_PSA_SD_mNS0_19identity_decomposerEEEvT1_T2_T3_T4_jPT5_SK_PNS1_23onesweep_lookback_stateET6_jjj.has_recursion, 0
	.set _ZN7rocprim17ROCPRIM_304000_NS6detail25onesweep_iteration_kernelINS1_34wrapped_radix_sort_onesweep_configINS0_14default_configEiN2at4cuda3cub6detail10OpaqueTypeILi4EEEEELb1EPiSC_PSA_SD_mNS0_19identity_decomposerEEEvT1_T2_T3_T4_jPT5_SK_PNS1_23onesweep_lookback_stateET6_jjj.has_indirect_call, 0
	.section	.AMDGPU.csdata,"",@progbits
; Kernel info:
; codeLenInByte = 16176
; TotalNumSgprs: 82
; NumVgprs: 65
; NumAgprs: 0
; TotalNumVgprs: 65
; ScratchSize: 0
; MemoryBound: 0
; FloatMode: 240
; IeeeMode: 1
; LDSByteSize: 24832 bytes/workgroup (compile time only)
; SGPRBlocks: 10
; VGPRBlocks: 8
; NumSGPRsForWavesPerEU: 82
; NumVGPRsForWavesPerEU: 65
; AccumOffset: 68
; Occupancy: 7
; WaveLimiterHint : 1
; COMPUTE_PGM_RSRC2:SCRATCH_EN: 0
; COMPUTE_PGM_RSRC2:USER_SGPR: 2
; COMPUTE_PGM_RSRC2:TRAP_HANDLER: 0
; COMPUTE_PGM_RSRC2:TGID_X_EN: 1
; COMPUTE_PGM_RSRC2:TGID_Y_EN: 0
; COMPUTE_PGM_RSRC2:TGID_Z_EN: 0
; COMPUTE_PGM_RSRC2:TIDIG_COMP_CNT: 2
; COMPUTE_PGM_RSRC3_GFX90A:ACCUM_OFFSET: 16
; COMPUTE_PGM_RSRC3_GFX90A:TG_SPLIT: 0
	.section	.text._ZN7rocprim17ROCPRIM_304000_NS6detail28radix_sort_block_sort_kernelINS1_36wrapped_radix_sort_block_sort_configINS0_13kernel_configILj256ELj4ELj4294967295EEEiN2at4cuda3cub6detail10OpaqueTypeILi4EEEEELb0EPKiPiPKSB_PSB_NS0_19identity_decomposerEEEvT1_T2_T3_T4_jT5_jj,"axG",@progbits,_ZN7rocprim17ROCPRIM_304000_NS6detail28radix_sort_block_sort_kernelINS1_36wrapped_radix_sort_block_sort_configINS0_13kernel_configILj256ELj4ELj4294967295EEEiN2at4cuda3cub6detail10OpaqueTypeILi4EEEEELb0EPKiPiPKSB_PSB_NS0_19identity_decomposerEEEvT1_T2_T3_T4_jT5_jj,comdat
	.protected	_ZN7rocprim17ROCPRIM_304000_NS6detail28radix_sort_block_sort_kernelINS1_36wrapped_radix_sort_block_sort_configINS0_13kernel_configILj256ELj4ELj4294967295EEEiN2at4cuda3cub6detail10OpaqueTypeILi4EEEEELb0EPKiPiPKSB_PSB_NS0_19identity_decomposerEEEvT1_T2_T3_T4_jT5_jj ; -- Begin function _ZN7rocprim17ROCPRIM_304000_NS6detail28radix_sort_block_sort_kernelINS1_36wrapped_radix_sort_block_sort_configINS0_13kernel_configILj256ELj4ELj4294967295EEEiN2at4cuda3cub6detail10OpaqueTypeILi4EEEEELb0EPKiPiPKSB_PSB_NS0_19identity_decomposerEEEvT1_T2_T3_T4_jT5_jj
	.globl	_ZN7rocprim17ROCPRIM_304000_NS6detail28radix_sort_block_sort_kernelINS1_36wrapped_radix_sort_block_sort_configINS0_13kernel_configILj256ELj4ELj4294967295EEEiN2at4cuda3cub6detail10OpaqueTypeILi4EEEEELb0EPKiPiPKSB_PSB_NS0_19identity_decomposerEEEvT1_T2_T3_T4_jT5_jj
	.p2align	8
	.type	_ZN7rocprim17ROCPRIM_304000_NS6detail28radix_sort_block_sort_kernelINS1_36wrapped_radix_sort_block_sort_configINS0_13kernel_configILj256ELj4ELj4294967295EEEiN2at4cuda3cub6detail10OpaqueTypeILi4EEEEELb0EPKiPiPKSB_PSB_NS0_19identity_decomposerEEEvT1_T2_T3_T4_jT5_jj,@function
_ZN7rocprim17ROCPRIM_304000_NS6detail28radix_sort_block_sort_kernelINS1_36wrapped_radix_sort_block_sort_configINS0_13kernel_configILj256ELj4ELj4294967295EEEiN2at4cuda3cub6detail10OpaqueTypeILi4EEEEELb0EPKiPiPKSB_PSB_NS0_19identity_decomposerEEEvT1_T2_T3_T4_jT5_jj: ; @_ZN7rocprim17ROCPRIM_304000_NS6detail28radix_sort_block_sort_kernelINS1_36wrapped_radix_sort_block_sort_configINS0_13kernel_configILj256ELj4ELj4294967295EEEiN2at4cuda3cub6detail10OpaqueTypeILi4EEEEELb0EPKiPiPKSB_PSB_NS0_19identity_decomposerEEEvT1_T2_T3_T4_jT5_jj
; %bb.0:
	s_load_dword s8, s[0:1], 0x20
	s_load_dwordx8 s[36:43], s[0:1], 0x0
	s_lshl_b32 s4, s2, 10
	s_mov_b32 s5, 0
	v_and_b32_e32 v8, 0x3ff, v0
	s_waitcnt lgkmcnt(0)
	s_lshr_b32 s3, s8, 10
	s_cmp_lg_u32 s2, s3
	s_cselect_b64 s[30:31], -1, 0
	s_lshl_b64 s[28:29], s[4:5], 2
	v_mbcnt_lo_u32_b32 v1, -1, 0
	s_add_u32 s6, s36, s28
	v_mbcnt_hi_u32_b32 v1, -1, v1
	v_lshlrev_b32_e32 v6, 2, v8
	s_addc_u32 s7, s37, s29
	v_and_b32_e32 v7, 0x300, v6
	v_mov_b32_e32 v13, 0
	v_lshlrev_b32_e32 v12, 2, v1
	v_lshl_add_u64 v[2:3], s[6:7], 0, v[12:13]
	v_lshlrev_b32_e32 v10, 2, v7
	v_mov_b32_e32 v11, v13
	s_cmp_eq_u32 s2, s3
	v_lshl_add_u64 v[14:15], v[2:3], 0, v[10:11]
	s_cbranch_scc1 .LBB16_2
; %bb.1:
	s_add_u32 s2, s40, s28
	s_addc_u32 s3, s41, s29
	v_lshl_add_u64 v[16:17], s[2:3], 0, v[12:13]
	global_load_dword v2, v[14:15], off
	global_load_dword v3, v[14:15], off offset:256
	global_load_dword v4, v[14:15], off offset:512
	;; [unrolled: 1-line block ×3, first 2 shown]
	v_lshl_add_u64 v[16:17], v[16:17], 0, v[10:11]
	global_load_dword v30, v[16:17], off
	global_load_dword v31, v[16:17], off offset:256
	global_load_dword v32, v[16:17], off offset:512
	s_mov_b64 s[6:7], -1
	s_sub_i32 s33, s8, s4
	s_cbranch_execz .LBB16_3
	s_branch .LBB16_16
.LBB16_2:
	s_mov_b64 s[6:7], 0
                                        ; implicit-def: $vgpr2_vgpr3_vgpr4_vgpr5
                                        ; implicit-def: $vgpr30
                                        ; implicit-def: $vgpr32
	s_sub_i32 s33, s8, s4
.LBB16_3:
	v_add_u32_e32 v7, v1, v7
	s_waitcnt vmcnt(6)
	v_bfrev_b32_e32 v2, -2
	v_cmp_gt_u32_e32 vcc, s33, v7
	s_waitcnt vmcnt(5)
	v_mov_b32_e32 v3, v2
	s_waitcnt vmcnt(4)
	v_mov_b32_e32 v4, v2
	;; [unrolled: 2-line block ×3, first 2 shown]
	s_and_saveexec_b64 s[2:3], vcc
	s_cbranch_execz .LBB16_5
; %bb.4:
	global_load_dword v16, v[14:15], off
	v_mov_b32_e32 v17, v2
	v_mov_b32_e32 v18, v2
	;; [unrolled: 1-line block ×3, first 2 shown]
	s_waitcnt vmcnt(0)
	v_mov_b64_e32 v[2:3], v[16:17]
	v_mov_b64_e32 v[4:5], v[18:19]
.LBB16_5:
	s_or_b64 exec, exec, s[2:3]
	v_add_u32_e32 v9, 64, v7
	v_cmp_gt_u32_e64 s[2:3], s33, v9
	s_and_saveexec_b64 s[4:5], s[2:3]
	s_cbranch_execz .LBB16_7
; %bb.6:
	global_load_dword v3, v[14:15], off offset:256
.LBB16_7:
	s_or_b64 exec, exec, s[4:5]
	v_add_u32_e32 v9, 0x80, v7
	v_cmp_gt_u32_e64 s[4:5], s33, v9
	s_and_saveexec_b64 s[6:7], s[4:5]
	s_cbranch_execz .LBB16_9
; %bb.8:
	global_load_dword v4, v[14:15], off offset:512
.LBB16_9:
	;; [unrolled: 8-line block ×3, first 2 shown]
	s_or_b64 exec, exec, s[8:9]
	s_add_u32 s8, s40, s28
	s_addc_u32 s9, s41, s29
	v_mov_b32_e32 v13, 0
	v_lshl_add_u64 v[14:15], s[8:9], 0, v[12:13]
	v_mov_b32_e32 v11, v13
	v_lshl_add_u64 v[14:15], v[14:15], 0, v[10:11]
                                        ; implicit-def: $vgpr30
	s_and_saveexec_b64 s[8:9], vcc
	s_cbranch_execnz .LBB16_55
; %bb.12:
	s_or_b64 exec, exec, s[8:9]
	s_and_saveexec_b64 s[8:9], s[2:3]
	s_cbranch_execnz .LBB16_56
.LBB16_13:
	s_or_b64 exec, exec, s[8:9]
                                        ; implicit-def: $vgpr32
	s_and_saveexec_b64 s[2:3], s[4:5]
	s_cbranch_execz .LBB16_15
.LBB16_14:
	global_load_dword v32, v[14:15], off offset:512
.LBB16_15:
	s_or_b64 exec, exec, s[2:3]
.LBB16_16:
	s_and_saveexec_b64 s[2:3], s[6:7]
	s_cbranch_execz .LBB16_18
; %bb.17:
	s_add_u32 s4, s40, s28
	s_addc_u32 s5, s41, s29
	v_mov_b32_e32 v13, 0
	v_lshl_add_u64 v[14:15], s[4:5], 0, v[12:13]
	v_mov_b32_e32 v11, v13
	v_lshl_add_u64 v[12:13], v[14:15], 0, v[10:11]
	global_load_dword v33, v[12:13], off offset:768
.LBB16_18:
	s_or_b64 exec, exec, s[2:3]
	s_load_dwordx2 s[34:35], s[0:1], 0x28
	s_waitcnt vmcnt(0)
	v_xor_b32_e32 v14, 0x80000000, v4
	s_load_dword s0, s[0:1], 0x3c
	v_bfe_u32 v4, v0, 10, 10
	v_bfe_u32 v0, v0, 20, 10
	v_xor_b32_e32 v15, 0x80000000, v5
	s_mov_b32 s26, 0
	s_waitcnt lgkmcnt(0)
	s_lshr_b32 s1, s0, 16
	s_and_b32 s0, s0, 0xffff
	v_mad_u32_u24 v0, v0, s1, v4
	v_mad_u64_u32 v[4:5], s[0:1], v0, s0, v[8:9]
	v_lshrrev_b32_e32 v0, 4, v4
	v_and_b32_e32 v9, 0xffffffc, v0
	v_and_b32_e32 v0, 15, v1
	v_cmp_eq_u32_e64 s[0:1], 0, v0
	v_cmp_lt_u32_e64 s[2:3], 1, v0
	v_cmp_lt_u32_e64 s[4:5], 3, v0
	;; [unrolled: 1-line block ×3, first 2 shown]
	v_and_b32_e32 v0, 16, v1
	v_cmp_eq_u32_e64 s[8:9], 0, v0
	v_and_b32_e32 v0, 0x3c0, v8
	v_min_u32_e32 v0, 0xc0, v0
	v_or_b32_e32 v0, 63, v0
	v_cmp_eq_u32_e64 s[12:13], v8, v0
	v_subrev_co_u32_e64 v0, s[18:19], 1, v1
	v_and_b32_e32 v4, 64, v1
	v_cmp_lt_i32_e32 vcc, v0, v4
	s_mov_b32 s27, s26
	s_mov_b32 s40, s26
	v_cndmask_b32_e32 v0, v0, v1, vcc
	v_lshlrev_b32_e32 v17, 2, v0
	v_lshrrev_b32_e32 v0, 4, v8
	v_and_b32_e32 v18, 60, v0
	v_and_b32_e32 v0, 3, v1
	s_mov_b32 s41, s26
	v_xor_b32_e32 v2, 0x80000000, v2
	v_xor_b32_e32 v3, 0x80000000, v3
	s_add_i32 s36, s35, s34
	v_lshlrev_b32_e32 v7, 2, v6
	v_cmp_lt_u32_e64 s[10:11], 31, v1
	v_cmp_gt_u32_e64 s[14:15], 4, v8
	v_cmp_lt_u32_e64 s[16:17], 63, v8
	v_cmp_eq_u32_e64 s[20:21], 0, v8
	v_mul_i32_i24_e32 v16, -12, v8
	v_cmp_eq_u32_e64 s[22:23], 0, v0
	v_cmp_lt_u32_e64 s[24:25], 1, v0
	v_add_u32_e32 v19, -4, v18
	v_lshl_add_u32 v20, v1, 2, v10
	v_mov_b64_e32 v[4:5], s[26:27]
	v_mov_b64_e32 v[10:11], s[40:41]
	v_mov_b32_e32 v13, 0
	s_branch .LBB16_20
.LBB16_19:                              ;   in Loop: Header=BB16_20 Depth=1
	s_andn2_b64 vcc, exec, s[26:27]
	s_mov_b32 s35, s37
	s_cbranch_vccz .LBB16_36
.LBB16_20:                              ; =>This Inner Loop Header: Depth=1
	v_mov_b32_e32 v28, v2
	s_min_u32 s26, s35, 8
	s_lshl_b32 s37, -1, s26
	v_lshrrev_b32_e32 v0, s34, v28
	v_bitop3_b32 v2, v0, s37, v0 bitop3:0x30
	v_and_b32_e32 v12, 1, v2
	v_lshl_add_u64 v[0:1], v[12:13], 0, -1
	v_cmp_ne_u32_e32 vcc, 0, v12
	v_mov_b32_e32 v26, v14
	v_mov_b32_e32 v27, v3
	v_xor_b32_e32 v1, vcc_hi, v1
	v_xor_b32_e32 v0, vcc_lo, v0
	v_and_b32_e32 v12, exec_hi, v1
	v_and_b32_e32 v14, exec_lo, v0
	v_lshlrev_b32_e32 v1, 30, v2
	v_mov_b32_e32 v0, v13
	v_cmp_gt_i64_e32 vcc, 0, v[0:1]
	v_not_b32_e32 v0, v1
	v_ashrrev_i32_e32 v0, 31, v0
	v_xor_b32_e32 v1, vcc_hi, v0
	v_xor_b32_e32 v0, vcc_lo, v0
	v_and_b32_e32 v12, v12, v1
	v_and_b32_e32 v14, v14, v0
	v_lshlrev_b32_e32 v1, 29, v2
	v_mov_b32_e32 v0, v13
	v_cmp_gt_i64_e32 vcc, 0, v[0:1]
	v_not_b32_e32 v0, v1
	v_ashrrev_i32_e32 v0, 31, v0
	v_xor_b32_e32 v1, vcc_hi, v0
	v_xor_b32_e32 v0, vcc_lo, v0
	v_and_b32_e32 v12, v12, v1
	v_and_b32_e32 v14, v14, v0
	;; [unrolled: 9-line block ×6, first 2 shown]
	v_lshlrev_b32_e32 v1, 24, v2
	v_mov_b32_e32 v0, v13
	v_cmp_gt_i64_e32 vcc, 0, v[0:1]
	v_not_b32_e32 v0, v1
	v_ashrrev_i32_e32 v0, 31, v0
	v_xor_b32_e32 v1, vcc_hi, v0
	v_xor_b32_e32 v0, vcc_lo, v0
	v_and_b32_e32 v0, v14, v0
	v_lshlrev_b32_e32 v3, 4, v2
	v_and_b32_e32 v1, v12, v1
	v_mbcnt_lo_u32_b32 v2, v0, 0
	v_mbcnt_hi_u32_b32 v14, v1, v2
	v_cmp_eq_u32_e32 vcc, 0, v14
	v_cmp_ne_u64_e64 s[26:27], 0, v[0:1]
	v_mov_b32_e32 v25, v15
	v_mov_b32_e32 v24, v30
	;; [unrolled: 1-line block ×5, first 2 shown]
	s_and_b64 s[40:41], s[26:27], vcc
	v_add_u32_e32 v15, v9, v3
	ds_write2_b64 v7, v[4:5], v[10:11] offset0:2 offset1:3
	s_waitcnt lgkmcnt(0)
	s_barrier
	; wave barrier
	s_and_saveexec_b64 s[26:27], s[40:41]
; %bb.21:                               ;   in Loop: Header=BB16_20 Depth=1
	v_bcnt_u32_b32 v0, v0, 0
	v_bcnt_u32_b32 v0, v1, v0
	ds_write_b32 v15, v0 offset:16
; %bb.22:                               ;   in Loop: Header=BB16_20 Depth=1
	s_or_b64 exec, exec, s[26:27]
	s_not_b32 s37, s37
	v_lshrrev_b32_e32 v0, s34, v27
	v_and_b32_e32 v2, s37, v0
	v_lshlrev_b32_e32 v0, 4, v2
	v_and_b32_e32 v12, 1, v2
	v_add_u32_e32 v30, v9, v0
	v_lshl_add_u64 v[0:1], v[12:13], 0, -1
	v_cmp_ne_u32_e32 vcc, 0, v12
	; wave barrier
	s_nop 1
	v_xor_b32_e32 v1, vcc_hi, v1
	v_xor_b32_e32 v0, vcc_lo, v0
	v_and_b32_e32 v3, exec_hi, v1
	v_and_b32_e32 v12, exec_lo, v0
	v_lshlrev_b32_e32 v1, 30, v2
	v_mov_b32_e32 v0, v13
	v_cmp_gt_i64_e32 vcc, 0, v[0:1]
	v_not_b32_e32 v0, v1
	v_ashrrev_i32_e32 v0, 31, v0
	v_xor_b32_e32 v1, vcc_hi, v0
	v_xor_b32_e32 v0, vcc_lo, v0
	v_and_b32_e32 v3, v3, v1
	v_and_b32_e32 v12, v12, v0
	v_lshlrev_b32_e32 v1, 29, v2
	v_mov_b32_e32 v0, v13
	v_cmp_gt_i64_e32 vcc, 0, v[0:1]
	v_not_b32_e32 v0, v1
	v_ashrrev_i32_e32 v0, 31, v0
	v_xor_b32_e32 v1, vcc_hi, v0
	v_xor_b32_e32 v0, vcc_lo, v0
	v_and_b32_e32 v3, v3, v1
	v_and_b32_e32 v12, v12, v0
	;; [unrolled: 9-line block ×6, first 2 shown]
	v_lshlrev_b32_e32 v1, 24, v2
	v_mov_b32_e32 v0, v13
	v_cmp_gt_i64_e32 vcc, 0, v[0:1]
	v_not_b32_e32 v0, v1
	v_ashrrev_i32_e32 v0, 31, v0
	v_xor_b32_e32 v1, vcc_hi, v0
	v_xor_b32_e32 v0, vcc_lo, v0
	ds_read_b32 v29, v30 offset:16
	v_and_b32_e32 v0, v12, v0
	v_and_b32_e32 v1, v3, v1
	v_mbcnt_lo_u32_b32 v2, v0, 0
	v_mbcnt_hi_u32_b32 v31, v1, v2
	v_cmp_eq_u32_e32 vcc, 0, v31
	v_cmp_ne_u64_e64 s[26:27], 0, v[0:1]
	s_and_b64 s[40:41], s[26:27], vcc
	; wave barrier
	s_and_saveexec_b64 s[26:27], s[40:41]
	s_cbranch_execz .LBB16_24
; %bb.23:                               ;   in Loop: Header=BB16_20 Depth=1
	v_bcnt_u32_b32 v0, v0, 0
	v_bcnt_u32_b32 v0, v1, v0
	s_waitcnt lgkmcnt(0)
	v_add_u32_e32 v0, v29, v0
	ds_write_b32 v30, v0 offset:16
.LBB16_24:                              ;   in Loop: Header=BB16_20 Depth=1
	s_or_b64 exec, exec, s[26:27]
	v_lshrrev_b32_e32 v0, s34, v26
	v_and_b32_e32 v2, s37, v0
	v_lshlrev_b32_e32 v0, 4, v2
	v_and_b32_e32 v12, 1, v2
	v_add_u32_e32 v33, v9, v0
	v_lshl_add_u64 v[0:1], v[12:13], 0, -1
	v_cmp_ne_u32_e32 vcc, 0, v12
	; wave barrier
	s_nop 1
	v_xor_b32_e32 v1, vcc_hi, v1
	v_xor_b32_e32 v0, vcc_lo, v0
	v_and_b32_e32 v3, exec_hi, v1
	v_and_b32_e32 v12, exec_lo, v0
	v_lshlrev_b32_e32 v1, 30, v2
	v_mov_b32_e32 v0, v13
	v_cmp_gt_i64_e32 vcc, 0, v[0:1]
	v_not_b32_e32 v0, v1
	v_ashrrev_i32_e32 v0, 31, v0
	v_xor_b32_e32 v1, vcc_hi, v0
	v_xor_b32_e32 v0, vcc_lo, v0
	v_and_b32_e32 v3, v3, v1
	v_and_b32_e32 v12, v12, v0
	v_lshlrev_b32_e32 v1, 29, v2
	v_mov_b32_e32 v0, v13
	v_cmp_gt_i64_e32 vcc, 0, v[0:1]
	v_not_b32_e32 v0, v1
	v_ashrrev_i32_e32 v0, 31, v0
	v_xor_b32_e32 v1, vcc_hi, v0
	v_xor_b32_e32 v0, vcc_lo, v0
	v_and_b32_e32 v3, v3, v1
	v_and_b32_e32 v12, v12, v0
	;; [unrolled: 9-line block ×6, first 2 shown]
	v_lshlrev_b32_e32 v1, 24, v2
	v_mov_b32_e32 v0, v13
	v_cmp_gt_i64_e32 vcc, 0, v[0:1]
	v_not_b32_e32 v0, v1
	v_ashrrev_i32_e32 v0, 31, v0
	v_xor_b32_e32 v1, vcc_hi, v0
	v_xor_b32_e32 v0, vcc_lo, v0
	ds_read_b32 v32, v33 offset:16
	v_and_b32_e32 v0, v12, v0
	v_and_b32_e32 v1, v3, v1
	v_mbcnt_lo_u32_b32 v2, v0, 0
	v_mbcnt_hi_u32_b32 v34, v1, v2
	v_cmp_eq_u32_e32 vcc, 0, v34
	v_cmp_ne_u64_e64 s[26:27], 0, v[0:1]
	s_and_b64 s[40:41], s[26:27], vcc
	; wave barrier
	s_and_saveexec_b64 s[26:27], s[40:41]
	s_cbranch_execz .LBB16_26
; %bb.25:                               ;   in Loop: Header=BB16_20 Depth=1
	v_bcnt_u32_b32 v0, v0, 0
	v_bcnt_u32_b32 v0, v1, v0
	s_waitcnt lgkmcnt(0)
	v_add_u32_e32 v0, v32, v0
	ds_write_b32 v33, v0 offset:16
.LBB16_26:                              ;   in Loop: Header=BB16_20 Depth=1
	s_or_b64 exec, exec, s[26:27]
	v_lshrrev_b32_e32 v0, s34, v25
	v_and_b32_e32 v2, s37, v0
	v_lshlrev_b32_e32 v0, 4, v2
	v_and_b32_e32 v12, 1, v2
	v_add_u32_e32 v36, v9, v0
	v_lshl_add_u64 v[0:1], v[12:13], 0, -1
	v_cmp_ne_u32_e32 vcc, 0, v12
	; wave barrier
	s_nop 1
	v_xor_b32_e32 v1, vcc_hi, v1
	v_xor_b32_e32 v0, vcc_lo, v0
	v_and_b32_e32 v3, exec_hi, v1
	v_and_b32_e32 v12, exec_lo, v0
	v_lshlrev_b32_e32 v1, 30, v2
	v_mov_b32_e32 v0, v13
	v_cmp_gt_i64_e32 vcc, 0, v[0:1]
	v_not_b32_e32 v0, v1
	v_ashrrev_i32_e32 v0, 31, v0
	v_xor_b32_e32 v1, vcc_hi, v0
	v_xor_b32_e32 v0, vcc_lo, v0
	v_and_b32_e32 v3, v3, v1
	v_and_b32_e32 v12, v12, v0
	v_lshlrev_b32_e32 v1, 29, v2
	v_mov_b32_e32 v0, v13
	v_cmp_gt_i64_e32 vcc, 0, v[0:1]
	v_not_b32_e32 v0, v1
	v_ashrrev_i32_e32 v0, 31, v0
	v_xor_b32_e32 v1, vcc_hi, v0
	v_xor_b32_e32 v0, vcc_lo, v0
	v_and_b32_e32 v3, v3, v1
	v_and_b32_e32 v12, v12, v0
	v_lshlrev_b32_e32 v1, 28, v2
	v_mov_b32_e32 v0, v13
	v_cmp_gt_i64_e32 vcc, 0, v[0:1]
	v_not_b32_e32 v0, v1
	v_ashrrev_i32_e32 v0, 31, v0
	v_xor_b32_e32 v1, vcc_hi, v0
	v_xor_b32_e32 v0, vcc_lo, v0
	v_and_b32_e32 v3, v3, v1
	v_and_b32_e32 v12, v12, v0
	v_lshlrev_b32_e32 v1, 27, v2
	v_mov_b32_e32 v0, v13
	v_cmp_gt_i64_e32 vcc, 0, v[0:1]
	v_not_b32_e32 v0, v1
	v_ashrrev_i32_e32 v0, 31, v0
	v_xor_b32_e32 v1, vcc_hi, v0
	v_xor_b32_e32 v0, vcc_lo, v0
	v_and_b32_e32 v3, v3, v1
	v_and_b32_e32 v12, v12, v0
	v_lshlrev_b32_e32 v1, 26, v2
	v_mov_b32_e32 v0, v13
	v_cmp_gt_i64_e32 vcc, 0, v[0:1]
	v_not_b32_e32 v0, v1
	v_ashrrev_i32_e32 v0, 31, v0
	v_xor_b32_e32 v1, vcc_hi, v0
	v_xor_b32_e32 v0, vcc_lo, v0
	v_and_b32_e32 v3, v3, v1
	v_and_b32_e32 v12, v12, v0
	v_lshlrev_b32_e32 v1, 25, v2
	v_mov_b32_e32 v0, v13
	v_cmp_gt_i64_e32 vcc, 0, v[0:1]
	v_not_b32_e32 v0, v1
	v_ashrrev_i32_e32 v0, 31, v0
	v_xor_b32_e32 v1, vcc_hi, v0
	v_xor_b32_e32 v0, vcc_lo, v0
	v_and_b32_e32 v3, v3, v1
	v_and_b32_e32 v12, v12, v0
	v_lshlrev_b32_e32 v1, 24, v2
	v_mov_b32_e32 v0, v13
	v_cmp_gt_i64_e32 vcc, 0, v[0:1]
	v_not_b32_e32 v0, v1
	v_ashrrev_i32_e32 v0, 31, v0
	v_xor_b32_e32 v1, vcc_hi, v0
	v_xor_b32_e32 v0, vcc_lo, v0
	ds_read_b32 v35, v36 offset:16
	v_and_b32_e32 v0, v12, v0
	v_and_b32_e32 v1, v3, v1
	v_mbcnt_lo_u32_b32 v2, v0, 0
	v_mbcnt_hi_u32_b32 v12, v1, v2
	v_cmp_eq_u32_e32 vcc, 0, v12
	v_cmp_ne_u64_e64 s[26:27], 0, v[0:1]
	s_and_b64 s[40:41], s[26:27], vcc
	; wave barrier
	s_and_saveexec_b64 s[26:27], s[40:41]
	s_cbranch_execz .LBB16_28
; %bb.27:                               ;   in Loop: Header=BB16_20 Depth=1
	v_bcnt_u32_b32 v0, v0, 0
	v_bcnt_u32_b32 v0, v1, v0
	s_waitcnt lgkmcnt(0)
	v_add_u32_e32 v0, v35, v0
	ds_write_b32 v36, v0 offset:16
.LBB16_28:                              ;   in Loop: Header=BB16_20 Depth=1
	s_or_b64 exec, exec, s[26:27]
	; wave barrier
	s_waitcnt lgkmcnt(0)
	s_barrier
	ds_read2_b64 v[0:3], v7 offset0:2 offset1:3
	s_waitcnt lgkmcnt(0)
	v_add_u32_e32 v37, v1, v0
	v_add3_u32 v3, v37, v2, v3
	s_nop 1
	v_mov_b32_dpp v37, v3 row_shr:1 row_mask:0xf bank_mask:0xf
	v_cndmask_b32_e64 v37, v37, 0, s[0:1]
	v_add_u32_e32 v3, v37, v3
	s_nop 1
	v_mov_b32_dpp v37, v3 row_shr:2 row_mask:0xf bank_mask:0xf
	v_cndmask_b32_e64 v37, 0, v37, s[2:3]
	v_add_u32_e32 v3, v3, v37
	;; [unrolled: 4-line block ×4, first 2 shown]
	s_nop 1
	v_mov_b32_dpp v37, v3 row_bcast:15 row_mask:0xf bank_mask:0xf
	v_cndmask_b32_e64 v37, v37, 0, s[8:9]
	v_add_u32_e32 v3, v3, v37
	s_nop 1
	v_mov_b32_dpp v37, v3 row_bcast:31 row_mask:0xf bank_mask:0xf
	v_cndmask_b32_e64 v37, 0, v37, s[10:11]
	v_add_u32_e32 v3, v3, v37
	s_and_saveexec_b64 s[26:27], s[12:13]
; %bb.29:                               ;   in Loop: Header=BB16_20 Depth=1
	ds_write_b32 v18, v3
; %bb.30:                               ;   in Loop: Header=BB16_20 Depth=1
	s_or_b64 exec, exec, s[26:27]
	s_waitcnt lgkmcnt(0)
	s_barrier
	s_and_saveexec_b64 s[26:27], s[14:15]
	s_cbranch_execz .LBB16_32
; %bb.31:                               ;   in Loop: Header=BB16_20 Depth=1
	v_add_u32_e32 v37, v7, v16
	ds_read_b32 v38, v37
	s_waitcnt lgkmcnt(0)
	s_nop 0
	v_mov_b32_dpp v39, v38 row_shr:1 row_mask:0xf bank_mask:0xf
	v_cndmask_b32_e64 v39, v39, 0, s[22:23]
	v_add_u32_e32 v38, v39, v38
	s_nop 1
	v_mov_b32_dpp v39, v38 row_shr:2 row_mask:0xf bank_mask:0xf
	v_cndmask_b32_e64 v39, 0, v39, s[24:25]
	v_add_u32_e32 v38, v38, v39
	ds_write_b32 v37, v38
.LBB16_32:                              ;   in Loop: Header=BB16_20 Depth=1
	s_or_b64 exec, exec, s[26:27]
	v_mov_b32_e32 v37, 0
	s_waitcnt lgkmcnt(0)
	s_barrier
	s_and_saveexec_b64 s[26:27], s[16:17]
; %bb.33:                               ;   in Loop: Header=BB16_20 Depth=1
	ds_read_b32 v37, v19
; %bb.34:                               ;   in Loop: Header=BB16_20 Depth=1
	s_or_b64 exec, exec, s[26:27]
	s_waitcnt lgkmcnt(0)
	v_add_u32_e32 v3, v37, v3
	ds_bpermute_b32 v3, v17, v3
	v_lshlrev_b32_e32 v14, 2, v14
	s_add_i32 s34, s34, 8
	s_cmp_ge_u32 s34, s36
	s_mov_b64 s[26:27], -1
	s_waitcnt lgkmcnt(0)
	v_cndmask_b32_e64 v3, v3, v37, s[18:19]
	v_cndmask_b32_e64 v38, v3, 0, s[20:21]
	v_add_u32_e32 v39, v38, v0
	v_add_u32_e32 v0, v39, v1
	;; [unrolled: 1-line block ×3, first 2 shown]
	ds_write2_b64 v7, v[38:39], v[0:1] offset0:2 offset1:3
	s_waitcnt lgkmcnt(0)
	s_barrier
	ds_read_b32 v0, v15 offset:16
	ds_read_b32 v1, v30 offset:16
	;; [unrolled: 1-line block ×4, first 2 shown]
	v_lshlrev_b32_e32 v15, 2, v29
	s_waitcnt lgkmcnt(3)
	v_lshl_add_u32 v0, v0, 2, v14
	v_lshlrev_b32_e32 v14, 2, v31
	s_waitcnt lgkmcnt(2)
	v_lshlrev_b32_e32 v1, 2, v1
	v_add3_u32 v1, v14, v15, v1
	v_lshlrev_b32_e32 v14, 2, v34
	v_lshlrev_b32_e32 v15, 2, v32
	s_waitcnt lgkmcnt(1)
	v_lshlrev_b32_e32 v2, 2, v2
	v_add3_u32 v29, v14, v15, v2
	v_lshlrev_b32_e32 v2, 2, v12
	v_lshlrev_b32_e32 v12, 2, v35
	s_waitcnt lgkmcnt(0)
	v_lshlrev_b32_e32 v3, 2, v3
	v_add3_u32 v12, v2, v12, v3
	v_readfirstlane_b32 s37, v0
                                        ; implicit-def: $vgpr15
                                        ; implicit-def: $vgpr3
                                        ; implicit-def: $vgpr30
                                        ; implicit-def: $vgpr32
	s_cbranch_scc1 .LBB16_19
; %bb.35:                               ;   in Loop: Header=BB16_20 Depth=1
	s_barrier
	ds_write_b32 v0, v28
	ds_write_b32 v1, v27
	;; [unrolled: 1-line block ×4, first 2 shown]
	s_waitcnt lgkmcnt(0)
	s_barrier
	ds_read2st64_b32 v[2:3], v20 offset1:1
	ds_read2st64_b32 v[14:15], v20 offset0:2 offset1:3
	s_waitcnt lgkmcnt(0)
	s_barrier
	ds_write_b32 v0, v24
	ds_write_b32 v1, v23
	;; [unrolled: 1-line block ×4, first 2 shown]
	s_waitcnt lgkmcnt(0)
	s_barrier
	ds_read2st64_b32 v[30:31], v20 offset1:1
	ds_read2st64_b32 v[32:33], v20 offset0:2 offset1:3
	s_add_i32 s37, s35, -8
	s_mov_b64 s[26:27], 0
	s_waitcnt lgkmcnt(0)
	s_barrier
	s_branch .LBB16_19
.LBB16_36:
	v_add_u32_e32 v7, v7, v16
	s_barrier
	ds_write_b32 v0, v28
	ds_write_b32 v1, v27
	;; [unrolled: 1-line block ×4, first 2 shown]
	s_waitcnt lgkmcnt(0)
	s_barrier
	ds_read2st64_b32 v[4:5], v7 offset1:4
	ds_read2st64_b32 v[14:15], v7 offset0:8 offset1:12
	s_waitcnt lgkmcnt(0)
	s_barrier
	ds_write_b32 v0, v24
	ds_write_b32 v1, v23
	;; [unrolled: 1-line block ×4, first 2 shown]
	s_waitcnt lgkmcnt(0)
	s_barrier
	ds_read2st64_b32 v[2:3], v7 offset1:4
	ds_read2st64_b32 v[0:1], v7 offset0:8 offset1:12
	s_add_u32 s0, s38, s28
	s_addc_u32 s1, s39, s29
	v_mov_b32_e32 v7, 0
	v_xor_b32_e32 v12, 0x80000000, v4
	v_xor_b32_e32 v11, 0x80000000, v5
	;; [unrolled: 1-line block ×4, first 2 shown]
	s_andn2_b64 vcc, exec, s[30:31]
	v_lshl_add_u64 v[4:5], s[0:1], 0, v[6:7]
	s_cbranch_vccnz .LBB16_38
; %bb.37:
	s_add_u32 s0, s42, s28
	s_addc_u32 s1, s43, s29
	global_store_dword v[4:5], v12, off
	global_store_dword v[4:5], v11, off offset:1024
	global_store_dword v[4:5], v10, off offset:2048
	;; [unrolled: 1-line block ×3, first 2 shown]
	s_waitcnt lgkmcnt(1)
	global_store_dword v6, v2, s[0:1]
	global_store_dword v6, v3, s[0:1] offset:1024
	s_waitcnt lgkmcnt(0)
	global_store_dword v6, v0, s[0:1] offset:2048
	s_mov_b64 s[4:5], -1
	s_cbranch_execz .LBB16_39
	s_branch .LBB16_52
.LBB16_38:
	s_mov_b64 s[4:5], 0
.LBB16_39:
	v_cmp_gt_u32_e32 vcc, s33, v8
	s_and_saveexec_b64 s[0:1], vcc
	s_cbranch_execz .LBB16_41
; %bb.40:
	global_store_dword v[4:5], v12, off
.LBB16_41:
	s_or_b64 exec, exec, s[0:1]
	v_add_u32_e32 v7, 0x100, v8
	v_cmp_gt_u32_e64 s[0:1], s33, v7
	s_and_saveexec_b64 s[2:3], s[0:1]
	s_cbranch_execz .LBB16_43
; %bb.42:
	global_store_dword v[4:5], v11, off offset:1024
.LBB16_43:
	s_or_b64 exec, exec, s[2:3]
	v_add_u32_e32 v7, 0x200, v8
	v_cmp_gt_u32_e64 s[2:3], s33, v7
	s_and_saveexec_b64 s[4:5], s[2:3]
	s_cbranch_execz .LBB16_45
; %bb.44:
	global_store_dword v[4:5], v10, off offset:2048
.LBB16_45:
	s_or_b64 exec, exec, s[4:5]
	v_add_u32_e32 v7, 0x300, v8
	v_cmp_gt_u32_e64 s[4:5], s33, v7
	s_and_saveexec_b64 s[6:7], s[4:5]
	s_cbranch_execz .LBB16_47
; %bb.46:
	global_store_dword v[4:5], v9, off offset:3072
.LBB16_47:
	s_or_b64 exec, exec, s[6:7]
	s_add_u32 s6, s42, s28
	s_addc_u32 s7, s43, s29
	v_mov_b32_e32 v7, 0
	v_lshl_add_u64 v[4:5], s[6:7], 0, v[6:7]
	s_and_saveexec_b64 s[6:7], vcc
	s_cbranch_execnz .LBB16_57
; %bb.48:
	s_or_b64 exec, exec, s[6:7]
	s_and_saveexec_b64 s[6:7], s[0:1]
	s_cbranch_execnz .LBB16_58
.LBB16_49:
	s_or_b64 exec, exec, s[6:7]
	s_and_saveexec_b64 s[0:1], s[2:3]
	s_cbranch_execz .LBB16_51
.LBB16_50:
	s_waitcnt lgkmcnt(0)
	global_store_dword v[4:5], v0, off offset:2048
.LBB16_51:
	s_or_b64 exec, exec, s[0:1]
.LBB16_52:
	s_and_saveexec_b64 s[0:1], s[4:5]
	s_cbranch_execnz .LBB16_54
; %bb.53:
	s_endpgm
.LBB16_54:
	s_add_u32 s0, s42, s28
	s_addc_u32 s1, s43, s29
	s_waitcnt lgkmcnt(0)
	global_store_dword v6, v1, s[0:1] offset:3072
	s_endpgm
.LBB16_55:
	global_load_dword v30, v[14:15], off
	s_or_b64 exec, exec, s[8:9]
	s_and_saveexec_b64 s[8:9], s[2:3]
	s_cbranch_execz .LBB16_13
.LBB16_56:
	global_load_dword v31, v[14:15], off offset:256
	s_or_b64 exec, exec, s[8:9]
                                        ; implicit-def: $vgpr32
	s_and_saveexec_b64 s[2:3], s[4:5]
	s_cbranch_execnz .LBB16_14
	s_branch .LBB16_15
.LBB16_57:
	s_waitcnt lgkmcnt(1)
	global_store_dword v[4:5], v2, off
	s_or_b64 exec, exec, s[6:7]
	s_and_saveexec_b64 s[6:7], s[0:1]
	s_cbranch_execz .LBB16_49
.LBB16_58:
	s_waitcnt lgkmcnt(1)
	global_store_dword v[4:5], v3, off offset:1024
	s_or_b64 exec, exec, s[6:7]
	s_and_saveexec_b64 s[0:1], s[2:3]
	s_cbranch_execnz .LBB16_50
	s_branch .LBB16_51
	.section	.rodata,"a",@progbits
	.p2align	6, 0x0
	.amdhsa_kernel _ZN7rocprim17ROCPRIM_304000_NS6detail28radix_sort_block_sort_kernelINS1_36wrapped_radix_sort_block_sort_configINS0_13kernel_configILj256ELj4ELj4294967295EEEiN2at4cuda3cub6detail10OpaqueTypeILi4EEEEELb0EPKiPiPKSB_PSB_NS0_19identity_decomposerEEEvT1_T2_T3_T4_jT5_jj
		.amdhsa_group_segment_fixed_size 4112
		.amdhsa_private_segment_fixed_size 0
		.amdhsa_kernarg_size 304
		.amdhsa_user_sgpr_count 2
		.amdhsa_user_sgpr_dispatch_ptr 0
		.amdhsa_user_sgpr_queue_ptr 0
		.amdhsa_user_sgpr_kernarg_segment_ptr 1
		.amdhsa_user_sgpr_dispatch_id 0
		.amdhsa_user_sgpr_kernarg_preload_length 0
		.amdhsa_user_sgpr_kernarg_preload_offset 0
		.amdhsa_user_sgpr_private_segment_size 0
		.amdhsa_uses_dynamic_stack 0
		.amdhsa_enable_private_segment 0
		.amdhsa_system_sgpr_workgroup_id_x 1
		.amdhsa_system_sgpr_workgroup_id_y 0
		.amdhsa_system_sgpr_workgroup_id_z 0
		.amdhsa_system_sgpr_workgroup_info 0
		.amdhsa_system_vgpr_workitem_id 2
		.amdhsa_next_free_vgpr 40
		.amdhsa_next_free_sgpr 44
		.amdhsa_accum_offset 40
		.amdhsa_reserve_vcc 1
		.amdhsa_float_round_mode_32 0
		.amdhsa_float_round_mode_16_64 0
		.amdhsa_float_denorm_mode_32 3
		.amdhsa_float_denorm_mode_16_64 3
		.amdhsa_dx10_clamp 1
		.amdhsa_ieee_mode 1
		.amdhsa_fp16_overflow 0
		.amdhsa_tg_split 0
		.amdhsa_exception_fp_ieee_invalid_op 0
		.amdhsa_exception_fp_denorm_src 0
		.amdhsa_exception_fp_ieee_div_zero 0
		.amdhsa_exception_fp_ieee_overflow 0
		.amdhsa_exception_fp_ieee_underflow 0
		.amdhsa_exception_fp_ieee_inexact 0
		.amdhsa_exception_int_div_zero 0
	.end_amdhsa_kernel
	.section	.text._ZN7rocprim17ROCPRIM_304000_NS6detail28radix_sort_block_sort_kernelINS1_36wrapped_radix_sort_block_sort_configINS0_13kernel_configILj256ELj4ELj4294967295EEEiN2at4cuda3cub6detail10OpaqueTypeILi4EEEEELb0EPKiPiPKSB_PSB_NS0_19identity_decomposerEEEvT1_T2_T3_T4_jT5_jj,"axG",@progbits,_ZN7rocprim17ROCPRIM_304000_NS6detail28radix_sort_block_sort_kernelINS1_36wrapped_radix_sort_block_sort_configINS0_13kernel_configILj256ELj4ELj4294967295EEEiN2at4cuda3cub6detail10OpaqueTypeILi4EEEEELb0EPKiPiPKSB_PSB_NS0_19identity_decomposerEEEvT1_T2_T3_T4_jT5_jj,comdat
.Lfunc_end16:
	.size	_ZN7rocprim17ROCPRIM_304000_NS6detail28radix_sort_block_sort_kernelINS1_36wrapped_radix_sort_block_sort_configINS0_13kernel_configILj256ELj4ELj4294967295EEEiN2at4cuda3cub6detail10OpaqueTypeILi4EEEEELb0EPKiPiPKSB_PSB_NS0_19identity_decomposerEEEvT1_T2_T3_T4_jT5_jj, .Lfunc_end16-_ZN7rocprim17ROCPRIM_304000_NS6detail28radix_sort_block_sort_kernelINS1_36wrapped_radix_sort_block_sort_configINS0_13kernel_configILj256ELj4ELj4294967295EEEiN2at4cuda3cub6detail10OpaqueTypeILi4EEEEELb0EPKiPiPKSB_PSB_NS0_19identity_decomposerEEEvT1_T2_T3_T4_jT5_jj
                                        ; -- End function
	.set _ZN7rocprim17ROCPRIM_304000_NS6detail28radix_sort_block_sort_kernelINS1_36wrapped_radix_sort_block_sort_configINS0_13kernel_configILj256ELj4ELj4294967295EEEiN2at4cuda3cub6detail10OpaqueTypeILi4EEEEELb0EPKiPiPKSB_PSB_NS0_19identity_decomposerEEEvT1_T2_T3_T4_jT5_jj.num_vgpr, 40
	.set _ZN7rocprim17ROCPRIM_304000_NS6detail28radix_sort_block_sort_kernelINS1_36wrapped_radix_sort_block_sort_configINS0_13kernel_configILj256ELj4ELj4294967295EEEiN2at4cuda3cub6detail10OpaqueTypeILi4EEEEELb0EPKiPiPKSB_PSB_NS0_19identity_decomposerEEEvT1_T2_T3_T4_jT5_jj.num_agpr, 0
	.set _ZN7rocprim17ROCPRIM_304000_NS6detail28radix_sort_block_sort_kernelINS1_36wrapped_radix_sort_block_sort_configINS0_13kernel_configILj256ELj4ELj4294967295EEEiN2at4cuda3cub6detail10OpaqueTypeILi4EEEEELb0EPKiPiPKSB_PSB_NS0_19identity_decomposerEEEvT1_T2_T3_T4_jT5_jj.numbered_sgpr, 44
	.set _ZN7rocprim17ROCPRIM_304000_NS6detail28radix_sort_block_sort_kernelINS1_36wrapped_radix_sort_block_sort_configINS0_13kernel_configILj256ELj4ELj4294967295EEEiN2at4cuda3cub6detail10OpaqueTypeILi4EEEEELb0EPKiPiPKSB_PSB_NS0_19identity_decomposerEEEvT1_T2_T3_T4_jT5_jj.num_named_barrier, 0
	.set _ZN7rocprim17ROCPRIM_304000_NS6detail28radix_sort_block_sort_kernelINS1_36wrapped_radix_sort_block_sort_configINS0_13kernel_configILj256ELj4ELj4294967295EEEiN2at4cuda3cub6detail10OpaqueTypeILi4EEEEELb0EPKiPiPKSB_PSB_NS0_19identity_decomposerEEEvT1_T2_T3_T4_jT5_jj.private_seg_size, 0
	.set _ZN7rocprim17ROCPRIM_304000_NS6detail28radix_sort_block_sort_kernelINS1_36wrapped_radix_sort_block_sort_configINS0_13kernel_configILj256ELj4ELj4294967295EEEiN2at4cuda3cub6detail10OpaqueTypeILi4EEEEELb0EPKiPiPKSB_PSB_NS0_19identity_decomposerEEEvT1_T2_T3_T4_jT5_jj.uses_vcc, 1
	.set _ZN7rocprim17ROCPRIM_304000_NS6detail28radix_sort_block_sort_kernelINS1_36wrapped_radix_sort_block_sort_configINS0_13kernel_configILj256ELj4ELj4294967295EEEiN2at4cuda3cub6detail10OpaqueTypeILi4EEEEELb0EPKiPiPKSB_PSB_NS0_19identity_decomposerEEEvT1_T2_T3_T4_jT5_jj.uses_flat_scratch, 0
	.set _ZN7rocprim17ROCPRIM_304000_NS6detail28radix_sort_block_sort_kernelINS1_36wrapped_radix_sort_block_sort_configINS0_13kernel_configILj256ELj4ELj4294967295EEEiN2at4cuda3cub6detail10OpaqueTypeILi4EEEEELb0EPKiPiPKSB_PSB_NS0_19identity_decomposerEEEvT1_T2_T3_T4_jT5_jj.has_dyn_sized_stack, 0
	.set _ZN7rocprim17ROCPRIM_304000_NS6detail28radix_sort_block_sort_kernelINS1_36wrapped_radix_sort_block_sort_configINS0_13kernel_configILj256ELj4ELj4294967295EEEiN2at4cuda3cub6detail10OpaqueTypeILi4EEEEELb0EPKiPiPKSB_PSB_NS0_19identity_decomposerEEEvT1_T2_T3_T4_jT5_jj.has_recursion, 0
	.set _ZN7rocprim17ROCPRIM_304000_NS6detail28radix_sort_block_sort_kernelINS1_36wrapped_radix_sort_block_sort_configINS0_13kernel_configILj256ELj4ELj4294967295EEEiN2at4cuda3cub6detail10OpaqueTypeILi4EEEEELb0EPKiPiPKSB_PSB_NS0_19identity_decomposerEEEvT1_T2_T3_T4_jT5_jj.has_indirect_call, 0
	.section	.AMDGPU.csdata,"",@progbits
; Kernel info:
; codeLenInByte = 3748
; TotalNumSgprs: 50
; NumVgprs: 40
; NumAgprs: 0
; TotalNumVgprs: 40
; ScratchSize: 0
; MemoryBound: 0
; FloatMode: 240
; IeeeMode: 1
; LDSByteSize: 4112 bytes/workgroup (compile time only)
; SGPRBlocks: 6
; VGPRBlocks: 4
; NumSGPRsForWavesPerEU: 50
; NumVGPRsForWavesPerEU: 40
; AccumOffset: 40
; Occupancy: 8
; WaveLimiterHint : 1
; COMPUTE_PGM_RSRC2:SCRATCH_EN: 0
; COMPUTE_PGM_RSRC2:USER_SGPR: 2
; COMPUTE_PGM_RSRC2:TRAP_HANDLER: 0
; COMPUTE_PGM_RSRC2:TGID_X_EN: 1
; COMPUTE_PGM_RSRC2:TGID_Y_EN: 0
; COMPUTE_PGM_RSRC2:TGID_Z_EN: 0
; COMPUTE_PGM_RSRC2:TIDIG_COMP_CNT: 2
; COMPUTE_PGM_RSRC3_GFX90A:ACCUM_OFFSET: 9
; COMPUTE_PGM_RSRC3_GFX90A:TG_SPLIT: 0
	.section	.text._ZN7rocprim17ROCPRIM_304000_NS6detail45device_block_merge_mergepath_partition_kernelINS1_37wrapped_merge_sort_block_merge_configINS0_14default_configEiN2at4cuda3cub6detail10OpaqueTypeILi4EEEEEPijNS1_19radix_merge_compareILb0ELb0EiNS0_19identity_decomposerEEEEEvT0_T1_jPSH_T2_SH_,"axG",@progbits,_ZN7rocprim17ROCPRIM_304000_NS6detail45device_block_merge_mergepath_partition_kernelINS1_37wrapped_merge_sort_block_merge_configINS0_14default_configEiN2at4cuda3cub6detail10OpaqueTypeILi4EEEEEPijNS1_19radix_merge_compareILb0ELb0EiNS0_19identity_decomposerEEEEEvT0_T1_jPSH_T2_SH_,comdat
	.protected	_ZN7rocprim17ROCPRIM_304000_NS6detail45device_block_merge_mergepath_partition_kernelINS1_37wrapped_merge_sort_block_merge_configINS0_14default_configEiN2at4cuda3cub6detail10OpaqueTypeILi4EEEEEPijNS1_19radix_merge_compareILb0ELb0EiNS0_19identity_decomposerEEEEEvT0_T1_jPSH_T2_SH_ ; -- Begin function _ZN7rocprim17ROCPRIM_304000_NS6detail45device_block_merge_mergepath_partition_kernelINS1_37wrapped_merge_sort_block_merge_configINS0_14default_configEiN2at4cuda3cub6detail10OpaqueTypeILi4EEEEEPijNS1_19radix_merge_compareILb0ELb0EiNS0_19identity_decomposerEEEEEvT0_T1_jPSH_T2_SH_
	.globl	_ZN7rocprim17ROCPRIM_304000_NS6detail45device_block_merge_mergepath_partition_kernelINS1_37wrapped_merge_sort_block_merge_configINS0_14default_configEiN2at4cuda3cub6detail10OpaqueTypeILi4EEEEEPijNS1_19radix_merge_compareILb0ELb0EiNS0_19identity_decomposerEEEEEvT0_T1_jPSH_T2_SH_
	.p2align	8
	.type	_ZN7rocprim17ROCPRIM_304000_NS6detail45device_block_merge_mergepath_partition_kernelINS1_37wrapped_merge_sort_block_merge_configINS0_14default_configEiN2at4cuda3cub6detail10OpaqueTypeILi4EEEEEPijNS1_19radix_merge_compareILb0ELb0EiNS0_19identity_decomposerEEEEEvT0_T1_jPSH_T2_SH_,@function
_ZN7rocprim17ROCPRIM_304000_NS6detail45device_block_merge_mergepath_partition_kernelINS1_37wrapped_merge_sort_block_merge_configINS0_14default_configEiN2at4cuda3cub6detail10OpaqueTypeILi4EEEEEPijNS1_19radix_merge_compareILb0ELb0EiNS0_19identity_decomposerEEEEEvT0_T1_jPSH_T2_SH_: ; @_ZN7rocprim17ROCPRIM_304000_NS6detail45device_block_merge_mergepath_partition_kernelINS1_37wrapped_merge_sort_block_merge_configINS0_14default_configEiN2at4cuda3cub6detail10OpaqueTypeILi4EEEEEPijNS1_19radix_merge_compareILb0ELb0EiNS0_19identity_decomposerEEEEEvT0_T1_jPSH_T2_SH_
; %bb.0:
	s_load_dwordx2 s[4:5], s[0:1], 0x8
	v_lshl_or_b32 v0, s2, 7, v0
	s_waitcnt lgkmcnt(0)
	v_cmp_gt_u32_e32 vcc, s5, v0
	s_and_saveexec_b64 s[2:3], vcc
	s_cbranch_execz .LBB17_6
; %bb.1:
	s_load_dword s2, s[0:1], 0x1c
	s_waitcnt lgkmcnt(0)
	s_lshr_b32 s3, s2, 9
	s_and_b32 s3, s3, 0x7ffffe
	s_add_i32 s5, s3, -1
	s_sub_i32 s3, 0, s3
	v_and_b32_e32 v1, s3, v0
	v_and_b32_e32 v2, s5, v0
	v_lshlrev_b32_e32 v1, 10, v1
	v_lshlrev_b32_e32 v3, 10, v2
	v_min_u32_e32 v2, s4, v1
	v_add_u32_e32 v1, s2, v1
	v_min_u32_e32 v4, s4, v1
	v_add_u32_e32 v1, s2, v4
	v_min_u32_e32 v1, s4, v1
	v_sub_u32_e32 v5, v1, v2
	v_min_u32_e32 v10, v5, v3
	v_sub_u32_e32 v3, v4, v2
	v_sub_u32_e32 v1, v1, v4
	v_sub_u32_e64 v1, v10, v1 clamp
	v_min_u32_e32 v11, v10, v3
	v_cmp_lt_u32_e32 vcc, v1, v11
	s_and_saveexec_b64 s[2:3], vcc
	s_cbranch_execz .LBB17_5
; %bb.2:
	s_load_dwordx2 s[4:5], s[0:1], 0x0
	v_mov_b32_e32 v5, 0
	v_mov_b32_e32 v3, v5
	s_waitcnt lgkmcnt(0)
	v_lshl_add_u64 v[6:7], v[2:3], 2, s[4:5]
	v_lshl_add_u64 v[8:9], v[4:5], 2, s[4:5]
	s_mov_b64 s[4:5], 0
.LBB17_3:                               ; =>This Inner Loop Header: Depth=1
	v_add_u32_e32 v3, v11, v1
	v_lshrrev_b32_e32 v4, 1, v3
	v_mov_b32_e32 v13, v5
	v_xad_u32 v12, v4, -1, v10
	v_lshl_add_u64 v[14:15], v[4:5], 2, v[6:7]
	v_lshl_add_u64 v[12:13], v[12:13], 2, v[8:9]
	global_load_dword v3, v[14:15], off
	global_load_dword v16, v[12:13], off
	v_add_u32_e32 v12, 1, v4
	s_waitcnt vmcnt(0)
	v_cmp_gt_i32_e32 vcc, v3, v16
	s_nop 1
	v_cndmask_b32_e32 v11, v11, v4, vcc
	v_cndmask_b32_e32 v1, v12, v1, vcc
	v_cmp_ge_u32_e32 vcc, v1, v11
	s_or_b64 s[4:5], vcc, s[4:5]
	s_andn2_b64 exec, exec, s[4:5]
	s_cbranch_execnz .LBB17_3
; %bb.4:
	s_or_b64 exec, exec, s[4:5]
.LBB17_5:
	s_or_b64 exec, exec, s[2:3]
	s_load_dwordx2 s[0:1], s[0:1], 0x10
	v_add_u32_e32 v2, v1, v2
	v_mov_b32_e32 v1, 0
	s_waitcnt lgkmcnt(0)
	v_lshl_add_u64 v[0:1], v[0:1], 2, s[0:1]
	global_store_dword v[0:1], v2, off
.LBB17_6:
	s_endpgm
	.section	.rodata,"a",@progbits
	.p2align	6, 0x0
	.amdhsa_kernel _ZN7rocprim17ROCPRIM_304000_NS6detail45device_block_merge_mergepath_partition_kernelINS1_37wrapped_merge_sort_block_merge_configINS0_14default_configEiN2at4cuda3cub6detail10OpaqueTypeILi4EEEEEPijNS1_19radix_merge_compareILb0ELb0EiNS0_19identity_decomposerEEEEEvT0_T1_jPSH_T2_SH_
		.amdhsa_group_segment_fixed_size 0
		.amdhsa_private_segment_fixed_size 0
		.amdhsa_kernarg_size 32
		.amdhsa_user_sgpr_count 2
		.amdhsa_user_sgpr_dispatch_ptr 0
		.amdhsa_user_sgpr_queue_ptr 0
		.amdhsa_user_sgpr_kernarg_segment_ptr 1
		.amdhsa_user_sgpr_dispatch_id 0
		.amdhsa_user_sgpr_kernarg_preload_length 0
		.amdhsa_user_sgpr_kernarg_preload_offset 0
		.amdhsa_user_sgpr_private_segment_size 0
		.amdhsa_uses_dynamic_stack 0
		.amdhsa_enable_private_segment 0
		.amdhsa_system_sgpr_workgroup_id_x 1
		.amdhsa_system_sgpr_workgroup_id_y 0
		.amdhsa_system_sgpr_workgroup_id_z 0
		.amdhsa_system_sgpr_workgroup_info 0
		.amdhsa_system_vgpr_workitem_id 0
		.amdhsa_next_free_vgpr 17
		.amdhsa_next_free_sgpr 6
		.amdhsa_accum_offset 20
		.amdhsa_reserve_vcc 1
		.amdhsa_float_round_mode_32 0
		.amdhsa_float_round_mode_16_64 0
		.amdhsa_float_denorm_mode_32 3
		.amdhsa_float_denorm_mode_16_64 3
		.amdhsa_dx10_clamp 1
		.amdhsa_ieee_mode 1
		.amdhsa_fp16_overflow 0
		.amdhsa_tg_split 0
		.amdhsa_exception_fp_ieee_invalid_op 0
		.amdhsa_exception_fp_denorm_src 0
		.amdhsa_exception_fp_ieee_div_zero 0
		.amdhsa_exception_fp_ieee_overflow 0
		.amdhsa_exception_fp_ieee_underflow 0
		.amdhsa_exception_fp_ieee_inexact 0
		.amdhsa_exception_int_div_zero 0
	.end_amdhsa_kernel
	.section	.text._ZN7rocprim17ROCPRIM_304000_NS6detail45device_block_merge_mergepath_partition_kernelINS1_37wrapped_merge_sort_block_merge_configINS0_14default_configEiN2at4cuda3cub6detail10OpaqueTypeILi4EEEEEPijNS1_19radix_merge_compareILb0ELb0EiNS0_19identity_decomposerEEEEEvT0_T1_jPSH_T2_SH_,"axG",@progbits,_ZN7rocprim17ROCPRIM_304000_NS6detail45device_block_merge_mergepath_partition_kernelINS1_37wrapped_merge_sort_block_merge_configINS0_14default_configEiN2at4cuda3cub6detail10OpaqueTypeILi4EEEEEPijNS1_19radix_merge_compareILb0ELb0EiNS0_19identity_decomposerEEEEEvT0_T1_jPSH_T2_SH_,comdat
.Lfunc_end17:
	.size	_ZN7rocprim17ROCPRIM_304000_NS6detail45device_block_merge_mergepath_partition_kernelINS1_37wrapped_merge_sort_block_merge_configINS0_14default_configEiN2at4cuda3cub6detail10OpaqueTypeILi4EEEEEPijNS1_19radix_merge_compareILb0ELb0EiNS0_19identity_decomposerEEEEEvT0_T1_jPSH_T2_SH_, .Lfunc_end17-_ZN7rocprim17ROCPRIM_304000_NS6detail45device_block_merge_mergepath_partition_kernelINS1_37wrapped_merge_sort_block_merge_configINS0_14default_configEiN2at4cuda3cub6detail10OpaqueTypeILi4EEEEEPijNS1_19radix_merge_compareILb0ELb0EiNS0_19identity_decomposerEEEEEvT0_T1_jPSH_T2_SH_
                                        ; -- End function
	.set _ZN7rocprim17ROCPRIM_304000_NS6detail45device_block_merge_mergepath_partition_kernelINS1_37wrapped_merge_sort_block_merge_configINS0_14default_configEiN2at4cuda3cub6detail10OpaqueTypeILi4EEEEEPijNS1_19radix_merge_compareILb0ELb0EiNS0_19identity_decomposerEEEEEvT0_T1_jPSH_T2_SH_.num_vgpr, 17
	.set _ZN7rocprim17ROCPRIM_304000_NS6detail45device_block_merge_mergepath_partition_kernelINS1_37wrapped_merge_sort_block_merge_configINS0_14default_configEiN2at4cuda3cub6detail10OpaqueTypeILi4EEEEEPijNS1_19radix_merge_compareILb0ELb0EiNS0_19identity_decomposerEEEEEvT0_T1_jPSH_T2_SH_.num_agpr, 0
	.set _ZN7rocprim17ROCPRIM_304000_NS6detail45device_block_merge_mergepath_partition_kernelINS1_37wrapped_merge_sort_block_merge_configINS0_14default_configEiN2at4cuda3cub6detail10OpaqueTypeILi4EEEEEPijNS1_19radix_merge_compareILb0ELb0EiNS0_19identity_decomposerEEEEEvT0_T1_jPSH_T2_SH_.numbered_sgpr, 6
	.set _ZN7rocprim17ROCPRIM_304000_NS6detail45device_block_merge_mergepath_partition_kernelINS1_37wrapped_merge_sort_block_merge_configINS0_14default_configEiN2at4cuda3cub6detail10OpaqueTypeILi4EEEEEPijNS1_19radix_merge_compareILb0ELb0EiNS0_19identity_decomposerEEEEEvT0_T1_jPSH_T2_SH_.num_named_barrier, 0
	.set _ZN7rocprim17ROCPRIM_304000_NS6detail45device_block_merge_mergepath_partition_kernelINS1_37wrapped_merge_sort_block_merge_configINS0_14default_configEiN2at4cuda3cub6detail10OpaqueTypeILi4EEEEEPijNS1_19radix_merge_compareILb0ELb0EiNS0_19identity_decomposerEEEEEvT0_T1_jPSH_T2_SH_.private_seg_size, 0
	.set _ZN7rocprim17ROCPRIM_304000_NS6detail45device_block_merge_mergepath_partition_kernelINS1_37wrapped_merge_sort_block_merge_configINS0_14default_configEiN2at4cuda3cub6detail10OpaqueTypeILi4EEEEEPijNS1_19radix_merge_compareILb0ELb0EiNS0_19identity_decomposerEEEEEvT0_T1_jPSH_T2_SH_.uses_vcc, 1
	.set _ZN7rocprim17ROCPRIM_304000_NS6detail45device_block_merge_mergepath_partition_kernelINS1_37wrapped_merge_sort_block_merge_configINS0_14default_configEiN2at4cuda3cub6detail10OpaqueTypeILi4EEEEEPijNS1_19radix_merge_compareILb0ELb0EiNS0_19identity_decomposerEEEEEvT0_T1_jPSH_T2_SH_.uses_flat_scratch, 0
	.set _ZN7rocprim17ROCPRIM_304000_NS6detail45device_block_merge_mergepath_partition_kernelINS1_37wrapped_merge_sort_block_merge_configINS0_14default_configEiN2at4cuda3cub6detail10OpaqueTypeILi4EEEEEPijNS1_19radix_merge_compareILb0ELb0EiNS0_19identity_decomposerEEEEEvT0_T1_jPSH_T2_SH_.has_dyn_sized_stack, 0
	.set _ZN7rocprim17ROCPRIM_304000_NS6detail45device_block_merge_mergepath_partition_kernelINS1_37wrapped_merge_sort_block_merge_configINS0_14default_configEiN2at4cuda3cub6detail10OpaqueTypeILi4EEEEEPijNS1_19radix_merge_compareILb0ELb0EiNS0_19identity_decomposerEEEEEvT0_T1_jPSH_T2_SH_.has_recursion, 0
	.set _ZN7rocprim17ROCPRIM_304000_NS6detail45device_block_merge_mergepath_partition_kernelINS1_37wrapped_merge_sort_block_merge_configINS0_14default_configEiN2at4cuda3cub6detail10OpaqueTypeILi4EEEEEPijNS1_19radix_merge_compareILb0ELb0EiNS0_19identity_decomposerEEEEEvT0_T1_jPSH_T2_SH_.has_indirect_call, 0
	.section	.AMDGPU.csdata,"",@progbits
; Kernel info:
; codeLenInByte = 320
; TotalNumSgprs: 12
; NumVgprs: 17
; NumAgprs: 0
; TotalNumVgprs: 17
; ScratchSize: 0
; MemoryBound: 0
; FloatMode: 240
; IeeeMode: 1
; LDSByteSize: 0 bytes/workgroup (compile time only)
; SGPRBlocks: 1
; VGPRBlocks: 2
; NumSGPRsForWavesPerEU: 12
; NumVGPRsForWavesPerEU: 17
; AccumOffset: 20
; Occupancy: 8
; WaveLimiterHint : 0
; COMPUTE_PGM_RSRC2:SCRATCH_EN: 0
; COMPUTE_PGM_RSRC2:USER_SGPR: 2
; COMPUTE_PGM_RSRC2:TRAP_HANDLER: 0
; COMPUTE_PGM_RSRC2:TGID_X_EN: 1
; COMPUTE_PGM_RSRC2:TGID_Y_EN: 0
; COMPUTE_PGM_RSRC2:TGID_Z_EN: 0
; COMPUTE_PGM_RSRC2:TIDIG_COMP_CNT: 0
; COMPUTE_PGM_RSRC3_GFX90A:ACCUM_OFFSET: 4
; COMPUTE_PGM_RSRC3_GFX90A:TG_SPLIT: 0
	.section	.text._ZN7rocprim17ROCPRIM_304000_NS6detail35device_block_merge_mergepath_kernelINS1_37wrapped_merge_sort_block_merge_configINS0_14default_configEiN2at4cuda3cub6detail10OpaqueTypeILi4EEEEEPiSC_PSA_SD_jNS1_19radix_merge_compareILb0ELb0EiNS0_19identity_decomposerEEEEEvT0_T1_T2_T3_T4_SL_jT5_PKSL_NS1_7vsmem_tE,"axG",@progbits,_ZN7rocprim17ROCPRIM_304000_NS6detail35device_block_merge_mergepath_kernelINS1_37wrapped_merge_sort_block_merge_configINS0_14default_configEiN2at4cuda3cub6detail10OpaqueTypeILi4EEEEEPiSC_PSA_SD_jNS1_19radix_merge_compareILb0ELb0EiNS0_19identity_decomposerEEEEEvT0_T1_T2_T3_T4_SL_jT5_PKSL_NS1_7vsmem_tE,comdat
	.protected	_ZN7rocprim17ROCPRIM_304000_NS6detail35device_block_merge_mergepath_kernelINS1_37wrapped_merge_sort_block_merge_configINS0_14default_configEiN2at4cuda3cub6detail10OpaqueTypeILi4EEEEEPiSC_PSA_SD_jNS1_19radix_merge_compareILb0ELb0EiNS0_19identity_decomposerEEEEEvT0_T1_T2_T3_T4_SL_jT5_PKSL_NS1_7vsmem_tE ; -- Begin function _ZN7rocprim17ROCPRIM_304000_NS6detail35device_block_merge_mergepath_kernelINS1_37wrapped_merge_sort_block_merge_configINS0_14default_configEiN2at4cuda3cub6detail10OpaqueTypeILi4EEEEEPiSC_PSA_SD_jNS1_19radix_merge_compareILb0ELb0EiNS0_19identity_decomposerEEEEEvT0_T1_T2_T3_T4_SL_jT5_PKSL_NS1_7vsmem_tE
	.globl	_ZN7rocprim17ROCPRIM_304000_NS6detail35device_block_merge_mergepath_kernelINS1_37wrapped_merge_sort_block_merge_configINS0_14default_configEiN2at4cuda3cub6detail10OpaqueTypeILi4EEEEEPiSC_PSA_SD_jNS1_19radix_merge_compareILb0ELb0EiNS0_19identity_decomposerEEEEEvT0_T1_T2_T3_T4_SL_jT5_PKSL_NS1_7vsmem_tE
	.p2align	8
	.type	_ZN7rocprim17ROCPRIM_304000_NS6detail35device_block_merge_mergepath_kernelINS1_37wrapped_merge_sort_block_merge_configINS0_14default_configEiN2at4cuda3cub6detail10OpaqueTypeILi4EEEEEPiSC_PSA_SD_jNS1_19radix_merge_compareILb0ELb0EiNS0_19identity_decomposerEEEEEvT0_T1_T2_T3_T4_SL_jT5_PKSL_NS1_7vsmem_tE,@function
_ZN7rocprim17ROCPRIM_304000_NS6detail35device_block_merge_mergepath_kernelINS1_37wrapped_merge_sort_block_merge_configINS0_14default_configEiN2at4cuda3cub6detail10OpaqueTypeILi4EEEEEPiSC_PSA_SD_jNS1_19radix_merge_compareILb0ELb0EiNS0_19identity_decomposerEEEEEvT0_T1_T2_T3_T4_SL_jT5_PKSL_NS1_7vsmem_tE: ; @_ZN7rocprim17ROCPRIM_304000_NS6detail35device_block_merge_mergepath_kernelINS1_37wrapped_merge_sort_block_merge_configINS0_14default_configEiN2at4cuda3cub6detail10OpaqueTypeILi4EEEEEPiSC_PSA_SD_jNS1_19radix_merge_compareILb0ELb0EiNS0_19identity_decomposerEEEEEvT0_T1_T2_T3_T4_SL_jT5_PKSL_NS1_7vsmem_tE
; %bb.0:
	s_load_dwordx2 s[34:35], s[0:1], 0x40
	s_load_dwordx4 s[16:19], s[0:1], 0x20
	s_add_u32 s30, s0, 64
	s_addc_u32 s31, s1, 0
	s_waitcnt lgkmcnt(0)
	s_mul_i32 s4, s35, s4
	s_add_i32 s3, s4, s3
	s_mul_i32 s3, s3, s34
	s_add_i32 s6, s3, s2
	s_cmp_ge_u32 s6, s18
	s_cbranch_scc1 .LBB18_67
; %bb.1:
	s_load_dwordx8 s[8:15], s[0:1], 0x0
	s_load_dwordx2 s[4:5], s[0:1], 0x30
	s_lshr_b32 s35, s16, 10
	s_cmp_lg_u32 s6, s35
	s_mov_b32 s7, 0
	s_cselect_b64 s[20:21], -1, 0
	s_lshl_b64 s[0:1], s[6:7], 2
	s_waitcnt lgkmcnt(0)
	s_add_u32 s0, s4, s0
	s_addc_u32 s1, s5, s1
	s_load_dwordx2 s[22:23], s[0:1], 0x0
	s_lshr_b32 s0, s17, 9
	s_and_b32 s0, s0, 0x7ffffe
	s_sub_i32 s0, 0, s0
	s_and_b32 s1, s6, s0
	s_lshl_b32 s3, s1, 10
	s_lshl_b32 s18, s6, 10
	;; [unrolled: 1-line block ×3, first 2 shown]
	s_sub_i32 s4, s18, s3
	s_add_i32 s1, s1, s17
	s_add_i32 s4, s1, s4
	s_waitcnt lgkmcnt(0)
	s_sub_i32 s5, s4, s22
	s_sub_i32 s4, s4, s23
	;; [unrolled: 1-line block ×3, first 2 shown]
	s_min_u32 s24, s16, s5
	s_addk_i32 s4, 0x400
	s_or_b32 s0, s6, s0
	s_min_u32 s3, s16, s1
	s_add_i32 s1, s1, s17
	s_cmp_eq_u32 s0, -1
	s_cselect_b32 s0, s1, s4
	s_cselect_b32 s1, s3, s23
	s_min_u32 s0, s0, s16
	s_mov_b32 s23, s7
	s_sub_i32 s19, s1, s22
	s_sub_i32 s33, s0, s24
	s_lshl_b64 s[26:27], s[22:23], 2
	s_add_u32 s0, s8, s26
	s_mov_b32 s25, s7
	s_addc_u32 s1, s9, s27
	s_lshl_b64 s[28:29], s[24:25], 2
	s_add_u32 s4, s8, s28
	s_addc_u32 s5, s9, s29
	s_cmp_lt_u32 s2, s34
	v_mov_b32_e32 v7, 0
	s_cselect_b32 s2, 12, 18
	global_load_dword v1, v7, s[30:31] offset:14
	s_add_u32 s2, s30, s2
	s_addc_u32 s3, s31, 0
	global_load_ushort v2, v7, s[2:3]
	v_cmp_gt_u32_e32 vcc, s19, v0
	s_cmp_eq_u32 s6, s35
	v_lshlrev_b32_e32 v6, 2, v0
	s_waitcnt vmcnt(1)
	v_lshrrev_b32_e32 v3, 16, v1
	v_and_b32_e32 v1, 0xffff, v1
	v_mul_lo_u32 v1, v1, v3
	s_waitcnt vmcnt(0)
	v_mul_lo_u32 v1, v1, v2
	v_add_u32_e32 v8, v1, v0
	s_cbranch_scc1 .LBB18_3
; %bb.2:
	v_subrev_u32_e32 v4, s19, v0
	v_lshlrev_b32_e32 v4, 2, v4
	v_mov_b32_e32 v5, v7
	v_lshl_add_u64 v[2:3], s[0:1], 0, v[6:7]
	v_lshl_add_u64 v[4:5], s[4:5], 0, v[4:5]
	v_cndmask_b32_e32 v3, v5, v3, vcc
	v_cndmask_b32_e32 v2, v4, v2, vcc
	v_mov_b32_e32 v9, v7
	v_subrev_co_u32_e32 v10, vcc, s19, v8
	v_mov_b32_e32 v11, v7
	v_lshl_add_u64 v[4:5], v[8:9], 2, s[0:1]
	v_lshl_add_u64 v[10:11], v[10:11], 2, s[4:5]
	v_cndmask_b32_e32 v4, v10, v4, vcc
	v_add_u32_e32 v10, v8, v1
	v_cndmask_b32_e32 v5, v11, v5, vcc
	v_mov_b32_e32 v11, v7
	v_subrev_co_u32_e32 v12, vcc, s19, v10
	v_mov_b32_e32 v13, v7
	global_load_dword v2, v[2:3], off
	v_lshl_add_u64 v[12:13], v[12:13], 2, s[4:5]
	global_load_dword v3, v[4:5], off
	v_lshl_add_u64 v[4:5], v[10:11], 2, s[0:1]
	v_add_u32_e32 v10, v10, v1
	v_cndmask_b32_e32 v5, v13, v5, vcc
	v_cndmask_b32_e32 v4, v12, v4, vcc
	v_lshl_add_u64 v[12:13], v[10:11], 2, s[0:1]
	v_subrev_co_u32_e32 v10, vcc, s19, v10
	v_lshl_add_u64 v[10:11], v[10:11], 2, s[4:5]
	s_nop 0
	v_cndmask_b32_e32 v11, v11, v13, vcc
	v_cndmask_b32_e32 v10, v10, v12, vcc
	global_load_dword v4, v[4:5], off
	s_add_i32 s17, s33, s19
	global_load_dword v5, v[10:11], off
	s_cbranch_execz .LBB18_4
	s_branch .LBB18_13
.LBB18_3:
                                        ; implicit-def: $vgpr2_vgpr3_vgpr4_vgpr5
                                        ; implicit-def: $sgpr17
.LBB18_4:
	s_add_i32 s17, s33, s19
	s_waitcnt vmcnt(3)
	v_mov_b32_e32 v2, 0
	v_cmp_gt_u32_e32 vcc, s17, v0
	s_waitcnt vmcnt(2)
	v_mov_b32_e32 v3, v2
	s_waitcnt vmcnt(1)
	v_mov_b32_e32 v4, v2
	;; [unrolled: 2-line block ×3, first 2 shown]
	s_and_saveexec_b64 s[2:3], vcc
	s_cbranch_execz .LBB18_6
; %bb.5:
	v_subrev_u32_e32 v3, s19, v0
	v_mov_b32_e32 v7, v2
	v_lshlrev_b32_e32 v10, 2, v3
	v_mov_b32_e32 v11, v2
	v_lshl_add_u64 v[4:5], s[0:1], 0, v[6:7]
	v_lshl_add_u64 v[10:11], s[4:5], 0, v[10:11]
	v_cmp_gt_u32_e32 vcc, s19, v0
	v_mov_b32_e32 v12, v2
	v_mov_b32_e32 v13, v2
	v_cndmask_b32_e32 v5, v11, v5, vcc
	v_cndmask_b32_e32 v4, v10, v4, vcc
	global_load_dword v10, v[4:5], off
	v_mov_b32_e32 v11, v2
	s_waitcnt vmcnt(0)
	v_mov_b64_e32 v[2:3], v[10:11]
	v_mov_b64_e32 v[4:5], v[12:13]
.LBB18_6:
	s_or_b64 exec, exec, s[2:3]
	v_cmp_gt_u32_e32 vcc, s17, v8
	s_and_saveexec_b64 s[2:3], vcc
	s_cbranch_execz .LBB18_8
; %bb.7:
	v_mov_b32_e32 v9, 0
	v_subrev_co_u32_e32 v12, vcc, s19, v8
	v_mov_b32_e32 v13, v9
	v_lshl_add_u64 v[10:11], v[8:9], 2, s[0:1]
	v_lshl_add_u64 v[12:13], v[12:13], 2, s[4:5]
	v_cndmask_b32_e32 v11, v13, v11, vcc
	v_cndmask_b32_e32 v10, v12, v10, vcc
	global_load_dword v3, v[10:11], off
.LBB18_8:
	s_or_b64 exec, exec, s[2:3]
	v_add_u32_e32 v8, v8, v1
	v_cmp_gt_u32_e32 vcc, s17, v8
	s_and_saveexec_b64 s[2:3], vcc
	s_cbranch_execz .LBB18_10
; %bb.9:
	v_mov_b32_e32 v9, 0
	v_subrev_co_u32_e32 v12, vcc, s19, v8
	v_mov_b32_e32 v13, v9
	v_lshl_add_u64 v[10:11], v[8:9], 2, s[0:1]
	v_lshl_add_u64 v[12:13], v[12:13], 2, s[4:5]
	v_cndmask_b32_e32 v11, v13, v11, vcc
	v_cndmask_b32_e32 v10, v12, v10, vcc
	global_load_dword v4, v[10:11], off
.LBB18_10:
	s_or_b64 exec, exec, s[2:3]
	v_add_u32_e32 v8, v8, v1
	v_cmp_gt_u32_e32 vcc, s17, v8
	s_and_saveexec_b64 s[2:3], vcc
	s_cbranch_execz .LBB18_12
; %bb.11:
	v_mov_b32_e32 v9, 0
	v_lshl_add_u64 v[10:11], v[8:9], 2, s[0:1]
	v_subrev_co_u32_e32 v8, vcc, s19, v8
	v_lshl_add_u64 v[8:9], v[8:9], 2, s[4:5]
	s_nop 0
	v_cndmask_b32_e32 v9, v9, v11, vcc
	v_cndmask_b32_e32 v8, v8, v10, vcc
	global_load_dword v5, v[8:9], off
.LBB18_12:
	s_or_b64 exec, exec, s[2:3]
.LBB18_13:
	v_min_u32_e32 v1, s17, v6
	v_sub_u32_e64 v7, v1, s33 clamp
	v_min_u32_e32 v8, s19, v1
	v_cmp_lt_u32_e32 vcc, v7, v8
	s_waitcnt vmcnt(0)
	ds_write2st64_b32 v6, v2, v3 offset1:4
	ds_write2st64_b32 v6, v4, v5 offset0:8 offset1:12
	s_waitcnt lgkmcnt(0)
	s_barrier
	s_and_saveexec_b64 s[0:1], vcc
	s_cbranch_execz .LBB18_17
; %bb.14:
	v_lshlrev_b32_e32 v9, 2, v1
	v_lshl_add_u32 v9, s19, 2, v9
	s_mov_b64 s[2:3], 0
.LBB18_15:                              ; =>This Inner Loop Header: Depth=1
	v_add_u32_e32 v10, v8, v7
	v_lshrrev_b32_e32 v10, 1, v10
	v_not_b32_e32 v11, v10
	v_lshlrev_b32_e32 v12, 2, v10
	v_lshl_add_u32 v11, v11, 2, v9
	ds_read_b32 v12, v12
	ds_read_b32 v11, v11
	v_add_u32_e32 v13, 1, v10
	s_waitcnt lgkmcnt(0)
	v_cmp_gt_i32_e32 vcc, v12, v11
	s_nop 1
	v_cndmask_b32_e32 v8, v8, v10, vcc
	v_cndmask_b32_e32 v7, v13, v7, vcc
	v_cmp_ge_u32_e32 vcc, v7, v8
	s_or_b64 s[2:3], vcc, s[2:3]
	s_andn2_b64 exec, exec, s[2:3]
	s_cbranch_execnz .LBB18_15
; %bb.16:
	s_or_b64 exec, exec, s[2:3]
.LBB18_17:
	s_or_b64 exec, exec, s[0:1]
	v_sub_u32_e32 v1, v1, v7
	v_add_u32_e32 v8, s19, v1
	v_cmp_ge_u32_e32 vcc, s19, v7
	v_cmp_ge_u32_e64 s[0:1], s17, v8
	s_or_b64 s[0:1], vcc, s[0:1]
	v_mov_b32_e32 v1, 0
	v_mov_b32_e32 v12, 0
	;; [unrolled: 1-line block ×4, first 2 shown]
	s_and_saveexec_b64 s[8:9], s[0:1]
	s_cbranch_execz .LBB18_23
; %bb.18:
	v_cmp_gt_u32_e32 vcc, s19, v7
                                        ; implicit-def: $vgpr1
	s_and_saveexec_b64 s[0:1], vcc
; %bb.19:
	v_lshlrev_b32_e32 v1, 2, v7
	ds_read_b32 v1, v1
; %bb.20:
	s_or_b64 exec, exec, s[0:1]
	v_cmp_le_u32_e64 s[0:1], s17, v8
	v_cmp_gt_u32_e64 s[2:3], s17, v8
                                        ; implicit-def: $vgpr2
	s_and_saveexec_b64 s[4:5], s[2:3]
; %bb.21:
	v_lshlrev_b32_e32 v2, 2, v8
	ds_read_b32 v2, v2
; %bb.22:
	s_or_b64 exec, exec, s[4:5]
	s_waitcnt lgkmcnt(0)
	v_cmp_le_i32_e64 s[2:3], v1, v2
	s_and_b64 s[2:3], vcc, s[2:3]
	s_or_b64 vcc, s[0:1], s[2:3]
	v_mov_b32_e32 v3, s17
	v_mov_b32_e32 v4, s19
	v_cndmask_b32_e32 v14, v8, v7, vcc
	v_cndmask_b32_e32 v5, v3, v4, vcc
	v_add_u32_e32 v9, 1, v14
	v_add_u32_e32 v5, -1, v5
	v_min_u32_e32 v5, v9, v5
	v_lshlrev_b32_e32 v5, 2, v5
	ds_read_b32 v5, v5
	v_cndmask_b32_e32 v7, v7, v9, vcc
	v_cndmask_b32_e32 v8, v9, v8, vcc
	v_cmp_gt_u32_e64 s[2:3], s19, v7
	v_cmp_le_u32_e64 s[0:1], s17, v8
	s_waitcnt lgkmcnt(0)
	v_cndmask_b32_e32 v10, v5, v2, vcc
	v_cndmask_b32_e32 v5, v1, v5, vcc
	v_cmp_le_i32_e64 s[4:5], v5, v10
	s_and_b64 s[2:3], s[2:3], s[4:5]
	s_or_b64 s[0:1], s[0:1], s[2:3]
	v_cndmask_b32_e64 v13, v8, v7, s[0:1]
	v_cndmask_b32_e64 v9, v3, v4, s[0:1]
	v_add_u32_e32 v11, 1, v13
	v_add_u32_e32 v9, -1, v9
	v_min_u32_e32 v9, v11, v9
	v_lshlrev_b32_e32 v9, 2, v9
	ds_read_b32 v9, v9
	v_cndmask_b32_e64 v7, v7, v11, s[0:1]
	v_cndmask_b32_e64 v8, v11, v8, s[0:1]
	v_cmp_gt_u32_e64 s[4:5], s19, v7
	v_cmp_le_u32_e64 s[2:3], s17, v8
	s_waitcnt lgkmcnt(0)
	v_cndmask_b32_e64 v15, v9, v10, s[0:1]
	v_cndmask_b32_e64 v9, v5, v9, s[0:1]
	v_cmp_le_i32_e64 s[6:7], v9, v15
	s_and_b64 s[4:5], s[4:5], s[6:7]
	s_or_b64 s[2:3], s[2:3], s[4:5]
	v_cndmask_b32_e64 v12, v8, v7, s[2:3]
	v_cndmask_b32_e64 v3, v3, v4, s[2:3]
	v_add_u32_e32 v11, 1, v12
	v_add_u32_e32 v3, -1, v3
	v_min_u32_e32 v3, v11, v3
	v_lshlrev_b32_e32 v3, 2, v3
	ds_read_b32 v16, v3
	v_cndmask_b32_e64 v3, v10, v5, s[0:1]
	v_cndmask_b32_e64 v4, v15, v9, s[2:3]
	;; [unrolled: 1-line block ×3, first 2 shown]
	v_cndmask_b32_e32 v2, v2, v1, vcc
	s_waitcnt lgkmcnt(0)
	v_cndmask_b32_e64 v5, v16, v15, s[2:3]
	v_cndmask_b32_e64 v9, v9, v16, s[2:3]
	;; [unrolled: 1-line block ×3, first 2 shown]
	v_cmp_gt_u32_e64 s[0:1], s19, v7
	v_cmp_le_i32_e64 s[2:3], v9, v5
	v_cmp_le_u32_e32 vcc, s17, v1
	s_and_b64 s[0:1], s[0:1], s[2:3]
	s_or_b64 vcc, vcc, s[0:1]
	v_cndmask_b32_e32 v1, v1, v7, vcc
	v_cndmask_b32_e32 v5, v5, v9, vcc
.LBB18_23:
	s_or_b64 exec, exec, s[8:9]
	s_add_u32 s8, s12, s26
	s_addc_u32 s9, s13, s27
	s_add_u32 s6, s12, s28
	v_cndmask_b32_e64 v7, 0, 1, s[20:21]
	v_mov_b32_e32 v9, 0
	s_addc_u32 s7, s13, s29
	v_cmp_gt_u32_e64 s[4:5], s19, v0
	v_cmp_ne_u32_e64 s[0:1], 1, v7
	s_andn2_b64 vcc, exec, s[20:21]
	v_cmp_le_u32_e64 s[2:3], s19, v0
	s_barrier
	s_cbranch_vccnz .LBB18_25
; %bb.24:
	v_subrev_u32_e32 v7, s19, v0
	v_lshlrev_b32_e32 v8, 2, v7
	v_mov_b32_e32 v7, v9
	v_lshl_add_u64 v[16:17], s[8:9], 0, v[6:7]
	v_or_b32_e32 v7, 0x100, v0
	v_lshl_add_u64 v[10:11], s[6:7], 0, v[8:9]
	v_subrev_u32_e32 v8, s19, v7
	v_cndmask_b32_e64 v11, v11, v17, s[4:5]
	v_cndmask_b32_e64 v10, v10, v16, s[4:5]
	v_min_u32_e32 v8, v7, v8
	v_mov_b32_e32 v16, s7
	v_mov_b32_e32 v17, s9
	v_cmp_gt_u32_e32 vcc, s19, v7
	v_mov_b32_e32 v18, s6
	v_mov_b32_e32 v19, s8
	global_load_dword v15, v[10:11], off
	v_cndmask_b32_e32 v11, v16, v17, vcc
	v_cndmask_b32_e32 v10, v18, v19, vcc
	v_lshlrev_b32_e32 v8, 2, v8
	v_or_b32_e32 v7, 0x200, v0
	v_lshl_add_u64 v[10:11], v[10:11], 0, v[8:9]
	v_subrev_u32_e32 v8, s19, v7
	v_min_u32_e32 v8, v7, v8
	v_cmp_gt_u32_e32 vcc, s19, v7
	global_load_dword v20, v[10:11], off
	v_lshlrev_b32_e32 v8, 2, v8
	v_cndmask_b32_e32 v11, v16, v17, vcc
	v_cndmask_b32_e32 v10, v18, v19, vcc
	v_lshl_add_u64 v[8:9], v[10:11], 0, v[8:9]
	global_load_dword v11, v[8:9], off
	v_or_b32_e32 v7, 0x300, v0
	v_subrev_u32_e32 v8, s19, v7
	v_cmp_gt_u32_e32 vcc, s19, v7
	v_min_u32_e32 v10, v7, v8
	s_nop 0
	v_cndmask_b32_e32 v9, v16, v17, vcc
	v_cndmask_b32_e32 v8, v18, v19, vcc
	s_mov_b64 s[4:5], -1
	s_waitcnt vmcnt(1)
	ds_write2st64_b32 v6, v15, v20 offset1:4
	s_waitcnt vmcnt(0)
	ds_write_b32 v6, v11 offset:2048
	s_cbranch_execz .LBB18_26
	s_branch .LBB18_41
.LBB18_25:
	s_mov_b64 s[4:5], 0
                                        ; implicit-def: $vgpr7
                                        ; implicit-def: $vgpr8_vgpr9
                                        ; implicit-def: $vgpr10
.LBB18_26:
	s_mov_b64 s[4:5], 0
                                        ; implicit-def: $vgpr8_vgpr9
	s_and_saveexec_b64 s[26:27], s[2:3]
	s_xor_b64 s[2:3], exec, s[26:27]
	s_cbranch_execnz .LBB18_68
; %bb.27:
	s_andn2_saveexec_b64 s[2:3], s[2:3]
	s_cbranch_execnz .LBB18_71
.LBB18_28:
	s_or_b64 exec, exec, s[2:3]
	s_and_saveexec_b64 s[2:3], s[4:5]
	s_cbranch_execz .LBB18_30
.LBB18_29:
	global_load_dword v7, v[8:9], off
	s_waitcnt vmcnt(0)
	ds_write_b32 v6, v7
.LBB18_30:
	s_or_b64 exec, exec, s[2:3]
	v_or_b32_e32 v7, 0x100, v0
	v_cmp_le_u32_e32 vcc, s19, v7
	s_mov_b64 s[2:3], -1
	v_mov_b64_e32 v[8:9], s[22:23]
	s_and_saveexec_b64 s[4:5], vcc
; %bb.31:
	v_subrev_u32_e32 v7, s19, v7
	v_cmp_gt_u32_e32 vcc, s33, v7
	v_mov_b64_e32 v[8:9], s[24:25]
	s_orn2_b64 s[2:3], vcc, exec
; %bb.32:
	s_or_b64 exec, exec, s[4:5]
	s_and_saveexec_b64 s[4:5], s[2:3]
	s_cbranch_execz .LBB18_34
; %bb.33:
	v_lshl_add_u64 v[8:9], v[8:9], 2, s[12:13]
	v_lshlrev_b32_e32 v10, 2, v7
	v_mov_b32_e32 v11, 0
	v_lshl_add_u64 v[8:9], v[8:9], 0, v[10:11]
	global_load_dword v7, v[8:9], off
	s_waitcnt vmcnt(0)
	ds_write_b32 v6, v7 offset:1024
.LBB18_34:
	s_or_b64 exec, exec, s[4:5]
	v_or_b32_e32 v7, 0x200, v0
	v_cmp_le_u32_e32 vcc, s19, v7
	s_mov_b64 s[2:3], -1
	v_mov_b64_e32 v[8:9], s[22:23]
	s_and_saveexec_b64 s[4:5], vcc
; %bb.35:
	v_subrev_u32_e32 v7, s19, v7
	v_cmp_gt_u32_e32 vcc, s33, v7
	v_mov_b64_e32 v[8:9], s[24:25]
	s_orn2_b64 s[2:3], vcc, exec
; %bb.36:
	s_or_b64 exec, exec, s[4:5]
	s_and_saveexec_b64 s[4:5], s[2:3]
	s_cbranch_execz .LBB18_38
; %bb.37:
	v_lshl_add_u64 v[8:9], v[8:9], 2, s[12:13]
	v_lshlrev_b32_e32 v10, 2, v7
	v_mov_b32_e32 v11, 0
	v_lshl_add_u64 v[8:9], v[8:9], 0, v[10:11]
	global_load_dword v7, v[8:9], off
	s_waitcnt vmcnt(0)
	ds_write_b32 v6, v7 offset:2048
.LBB18_38:
	s_or_b64 exec, exec, s[4:5]
	v_or_b32_e32 v7, 0x300, v0
	v_cmp_le_u32_e32 vcc, s19, v7
	s_mov_b64 s[4:5], -1
	v_mov_b64_e32 v[8:9], s[8:9]
	v_mov_b32_e32 v10, v7
	s_and_saveexec_b64 s[2:3], vcc
; %bb.39:
	v_subrev_u32_e32 v10, s19, v7
	v_cmp_gt_u32_e32 vcc, s33, v10
	v_mov_b64_e32 v[8:9], s[6:7]
	s_orn2_b64 s[4:5], vcc, exec
; %bb.40:
	s_or_b64 exec, exec, s[2:3]
.LBB18_41:
	s_and_saveexec_b64 s[2:3], s[4:5]
	s_cbranch_execz .LBB18_43
; %bb.42:
	v_mov_b32_e32 v11, 0
	v_lshl_add_u64 v[8:9], v[10:11], 2, v[8:9]
	global_load_dword v8, v[8:9], off
	v_lshlrev_b32_e32 v7, 2, v7
	s_waitcnt vmcnt(0)
	ds_write_b32 v7, v8
.LBB18_43:
	s_or_b64 exec, exec, s[2:3]
	s_and_b64 vcc, exec, s[0:1]
	v_add_u32_e32 v8, s18, v6
	s_waitcnt lgkmcnt(0)
	s_barrier
	s_cbranch_vccnz .LBB18_45
; %bb.44:
	v_lshlrev_b32_e32 v7, 2, v14
	v_lshlrev_b32_e32 v9, 2, v13
	;; [unrolled: 1-line block ×3, first 2 shown]
	ds_read_b32 v16, v7
	ds_read_b32 v17, v9
	;; [unrolled: 1-line block ×3, first 2 shown]
	v_mov_b32_e32 v9, 0
	v_lshl_add_u64 v[10:11], v[8:9], 2, s[14:15]
	s_mov_b64 s[0:1], -1
	s_waitcnt lgkmcnt(0)
	global_store_dwordx3 v[10:11], v[16:18], off
	s_cbranch_execz .LBB18_46
	s_branch .LBB18_55
.LBB18_45:
	s_mov_b64 s[0:1], 0
.LBB18_46:
	v_cmp_gt_u32_e32 vcc, s17, v6
	s_and_saveexec_b64 s[2:3], vcc
	s_cbranch_execz .LBB18_48
; %bb.47:
	v_lshlrev_b32_e32 v7, 2, v14
	ds_read_b32 v7, v7
	v_mov_b32_e32 v9, 0
	v_lshl_add_u64 v[10:11], v[8:9], 2, s[14:15]
	s_waitcnt lgkmcnt(0)
	global_store_dword v[10:11], v7, off
.LBB18_48:
	s_or_b64 exec, exec, s[2:3]
	v_or_b32_e32 v7, 1, v6
	v_cmp_gt_u32_e32 vcc, s17, v7
	s_and_saveexec_b64 s[2:3], vcc
	s_cbranch_execz .LBB18_50
; %bb.49:
	v_lshlrev_b32_e32 v7, 2, v13
	ds_read_b32 v7, v7
	v_mov_b32_e32 v9, 0
	v_lshl_add_u64 v[10:11], v[8:9], 2, s[14:15]
	s_waitcnt lgkmcnt(0)
	global_store_dword v[10:11], v7, off offset:4
.LBB18_50:
	s_or_b64 exec, exec, s[2:3]
	v_or_b32_e32 v7, 2, v6
	v_cmp_gt_u32_e32 vcc, s17, v7
	s_and_saveexec_b64 s[2:3], vcc
	s_cbranch_execz .LBB18_52
; %bb.51:
	v_lshlrev_b32_e32 v7, 2, v12
	ds_read_b32 v7, v7
	v_mov_b32_e32 v9, 0
	v_lshl_add_u64 v[10:11], v[8:9], 2, s[14:15]
	s_waitcnt lgkmcnt(0)
	global_store_dword v[10:11], v7, off offset:8
.LBB18_52:
	s_or_b64 exec, exec, s[2:3]
	v_or_b32_e32 v7, 3, v6
	v_cmp_gt_u32_e32 vcc, s17, v7
	s_and_saveexec_b64 s[2:3], vcc
; %bb.53:
	v_mov_b32_e32 v9, 0
	s_or_b64 s[0:1], s[0:1], exec
; %bb.54:
	s_or_b64 exec, exec, s[2:3]
.LBB18_55:
	s_and_saveexec_b64 s[2:3], s[0:1]
	s_cbranch_execz .LBB18_57
; %bb.56:
	v_lshlrev_b32_e32 v1, 2, v1
	ds_read_b32 v1, v1
	v_lshl_add_u64 v[8:9], v[8:9], 2, s[14:15]
	s_waitcnt lgkmcnt(0)
	global_store_dword v[8:9], v1, off offset:12
.LBB18_57:
	s_or_b64 exec, exec, s[2:3]
	v_lshrrev_b32_e32 v1, 3, v0
	v_lshlrev_b32_e32 v7, 2, v6
	v_lshl_add_u32 v7, v1, 2, v7
	s_barrier
	s_barrier
	ds_write2_b32 v7, v2, v3 offset1:1
	ds_write2_b32 v7, v4, v5 offset0:2 offset1:3
	v_and_b32_e32 v1, 28, v1
	v_or_b32_e32 v5, 0x100, v0
	v_add_u32_e32 v8, v1, v6
	v_lshrrev_b32_e32 v1, 3, v5
	v_and_b32_e32 v1, 60, v1
	v_or_b32_e32 v4, 0x200, v0
	v_add_u32_e32 v9, v1, v6
	v_lshrrev_b32_e32 v1, 3, v4
	s_mov_b32 s19, 0
	v_and_b32_e32 v1, 0x5c, v1
	s_lshl_b64 s[0:1], s[18:19], 2
	v_add_u32_e32 v10, v1, v6
	v_or_b32_e32 v1, 0x300, v0
	s_add_u32 s0, s10, s0
	v_lshrrev_b32_e32 v2, 3, v1
	s_addc_u32 s1, s11, s1
	v_and_b32_e32 v2, 0x7c, v2
	v_mov_b32_e32 v7, 0
	v_add_u32_e32 v11, v2, v6
	v_lshl_add_u64 v[2:3], s[0:1], 0, v[6:7]
	s_and_b64 vcc, exec, s[20:21]
	s_waitcnt lgkmcnt(0)
	s_cbranch_vccz .LBB18_59
; %bb.58:
	s_barrier
	ds_read_b32 v6, v8
	ds_read_b32 v7, v9 offset:1024
	ds_read_b32 v13, v10 offset:2048
	;; [unrolled: 1-line block ×3, first 2 shown]
	s_waitcnt lgkmcnt(3)
	global_store_dword v[2:3], v6, off
	s_waitcnt lgkmcnt(2)
	global_store_dword v[2:3], v7, off offset:1024
	s_waitcnt lgkmcnt(1)
	global_store_dword v[2:3], v13, off offset:2048
	s_mov_b64 s[0:1], -1
	s_cbranch_execz .LBB18_60
	s_branch .LBB18_65
.LBB18_59:
	s_mov_b64 s[0:1], 0
                                        ; implicit-def: $vgpr12
.LBB18_60:
	s_barrier
	s_waitcnt lgkmcnt(0)
	ds_read_b32 v7, v9 offset:1024
	ds_read_b32 v6, v10 offset:2048
	;; [unrolled: 1-line block ×3, first 2 shown]
	s_sub_i32 s2, s16, s18
	v_cmp_gt_u32_e32 vcc, s2, v0
	s_and_saveexec_b64 s[0:1], vcc
	s_cbranch_execnz .LBB18_72
; %bb.61:
	s_or_b64 exec, exec, s[0:1]
	v_cmp_gt_u32_e32 vcc, s2, v5
	s_and_saveexec_b64 s[0:1], vcc
	s_cbranch_execnz .LBB18_73
.LBB18_62:
	s_or_b64 exec, exec, s[0:1]
	v_cmp_gt_u32_e32 vcc, s2, v4
	s_and_saveexec_b64 s[0:1], vcc
	s_cbranch_execz .LBB18_64
.LBB18_63:
	s_waitcnt lgkmcnt(1)
	global_store_dword v[2:3], v6, off offset:2048
.LBB18_64:
	s_or_b64 exec, exec, s[0:1]
	v_cmp_gt_u32_e64 s[0:1], s2, v1
.LBB18_65:
	s_and_saveexec_b64 s[2:3], s[0:1]
	s_cbranch_execz .LBB18_67
; %bb.66:
	s_waitcnt lgkmcnt(0)
	global_store_dword v[2:3], v12, off offset:3072
.LBB18_67:
	s_endpgm
.LBB18_68:
	v_subrev_u32_e32 v7, s19, v0
	v_cmp_gt_u32_e32 vcc, s33, v7
                                        ; implicit-def: $vgpr8_vgpr9
	s_and_saveexec_b64 s[26:27], vcc
	s_xor_b64 s[26:27], exec, s[26:27]
; %bb.69:
	v_lshlrev_b32_e32 v8, 2, v7
	v_mov_b32_e32 v9, 0
	s_mov_b64 s[4:5], exec
	v_lshl_add_u64 v[8:9], s[6:7], 0, v[8:9]
; %bb.70:
	s_or_b64 exec, exec, s[26:27]
	s_and_b64 s[4:5], s[4:5], exec
	s_andn2_saveexec_b64 s[2:3], s[2:3]
	s_cbranch_execz .LBB18_28
.LBB18_71:
	v_mov_b32_e32 v7, 0
	v_lshl_add_u64 v[8:9], s[8:9], 0, v[6:7]
	s_or_b64 s[4:5], s[4:5], exec
	s_or_b64 exec, exec, s[2:3]
	s_and_saveexec_b64 s[2:3], s[4:5]
	s_cbranch_execnz .LBB18_29
	s_branch .LBB18_30
.LBB18_72:
	ds_read_b32 v0, v8
	s_waitcnt lgkmcnt(0)
	global_store_dword v[2:3], v0, off
	s_or_b64 exec, exec, s[0:1]
	v_cmp_gt_u32_e32 vcc, s2, v5
	s_and_saveexec_b64 s[0:1], vcc
	s_cbranch_execz .LBB18_62
.LBB18_73:
	s_waitcnt lgkmcnt(2)
	global_store_dword v[2:3], v7, off offset:1024
	s_or_b64 exec, exec, s[0:1]
	v_cmp_gt_u32_e32 vcc, s2, v4
	s_and_saveexec_b64 s[0:1], vcc
	s_cbranch_execnz .LBB18_63
	s_branch .LBB18_64
	.section	.rodata,"a",@progbits
	.p2align	6, 0x0
	.amdhsa_kernel _ZN7rocprim17ROCPRIM_304000_NS6detail35device_block_merge_mergepath_kernelINS1_37wrapped_merge_sort_block_merge_configINS0_14default_configEiN2at4cuda3cub6detail10OpaqueTypeILi4EEEEEPiSC_PSA_SD_jNS1_19radix_merge_compareILb0ELb0EiNS0_19identity_decomposerEEEEEvT0_T1_T2_T3_T4_SL_jT5_PKSL_NS1_7vsmem_tE
		.amdhsa_group_segment_fixed_size 4224
		.amdhsa_private_segment_fixed_size 0
		.amdhsa_kernarg_size 320
		.amdhsa_user_sgpr_count 2
		.amdhsa_user_sgpr_dispatch_ptr 0
		.amdhsa_user_sgpr_queue_ptr 0
		.amdhsa_user_sgpr_kernarg_segment_ptr 1
		.amdhsa_user_sgpr_dispatch_id 0
		.amdhsa_user_sgpr_kernarg_preload_length 0
		.amdhsa_user_sgpr_kernarg_preload_offset 0
		.amdhsa_user_sgpr_private_segment_size 0
		.amdhsa_uses_dynamic_stack 0
		.amdhsa_enable_private_segment 0
		.amdhsa_system_sgpr_workgroup_id_x 1
		.amdhsa_system_sgpr_workgroup_id_y 1
		.amdhsa_system_sgpr_workgroup_id_z 1
		.amdhsa_system_sgpr_workgroup_info 0
		.amdhsa_system_vgpr_workitem_id 0
		.amdhsa_next_free_vgpr 21
		.amdhsa_next_free_sgpr 36
		.amdhsa_accum_offset 24
		.amdhsa_reserve_vcc 1
		.amdhsa_float_round_mode_32 0
		.amdhsa_float_round_mode_16_64 0
		.amdhsa_float_denorm_mode_32 3
		.amdhsa_float_denorm_mode_16_64 3
		.amdhsa_dx10_clamp 1
		.amdhsa_ieee_mode 1
		.amdhsa_fp16_overflow 0
		.amdhsa_tg_split 0
		.amdhsa_exception_fp_ieee_invalid_op 0
		.amdhsa_exception_fp_denorm_src 0
		.amdhsa_exception_fp_ieee_div_zero 0
		.amdhsa_exception_fp_ieee_overflow 0
		.amdhsa_exception_fp_ieee_underflow 0
		.amdhsa_exception_fp_ieee_inexact 0
		.amdhsa_exception_int_div_zero 0
	.end_amdhsa_kernel
	.section	.text._ZN7rocprim17ROCPRIM_304000_NS6detail35device_block_merge_mergepath_kernelINS1_37wrapped_merge_sort_block_merge_configINS0_14default_configEiN2at4cuda3cub6detail10OpaqueTypeILi4EEEEEPiSC_PSA_SD_jNS1_19radix_merge_compareILb0ELb0EiNS0_19identity_decomposerEEEEEvT0_T1_T2_T3_T4_SL_jT5_PKSL_NS1_7vsmem_tE,"axG",@progbits,_ZN7rocprim17ROCPRIM_304000_NS6detail35device_block_merge_mergepath_kernelINS1_37wrapped_merge_sort_block_merge_configINS0_14default_configEiN2at4cuda3cub6detail10OpaqueTypeILi4EEEEEPiSC_PSA_SD_jNS1_19radix_merge_compareILb0ELb0EiNS0_19identity_decomposerEEEEEvT0_T1_T2_T3_T4_SL_jT5_PKSL_NS1_7vsmem_tE,comdat
.Lfunc_end18:
	.size	_ZN7rocprim17ROCPRIM_304000_NS6detail35device_block_merge_mergepath_kernelINS1_37wrapped_merge_sort_block_merge_configINS0_14default_configEiN2at4cuda3cub6detail10OpaqueTypeILi4EEEEEPiSC_PSA_SD_jNS1_19radix_merge_compareILb0ELb0EiNS0_19identity_decomposerEEEEEvT0_T1_T2_T3_T4_SL_jT5_PKSL_NS1_7vsmem_tE, .Lfunc_end18-_ZN7rocprim17ROCPRIM_304000_NS6detail35device_block_merge_mergepath_kernelINS1_37wrapped_merge_sort_block_merge_configINS0_14default_configEiN2at4cuda3cub6detail10OpaqueTypeILi4EEEEEPiSC_PSA_SD_jNS1_19radix_merge_compareILb0ELb0EiNS0_19identity_decomposerEEEEEvT0_T1_T2_T3_T4_SL_jT5_PKSL_NS1_7vsmem_tE
                                        ; -- End function
	.set _ZN7rocprim17ROCPRIM_304000_NS6detail35device_block_merge_mergepath_kernelINS1_37wrapped_merge_sort_block_merge_configINS0_14default_configEiN2at4cuda3cub6detail10OpaqueTypeILi4EEEEEPiSC_PSA_SD_jNS1_19radix_merge_compareILb0ELb0EiNS0_19identity_decomposerEEEEEvT0_T1_T2_T3_T4_SL_jT5_PKSL_NS1_7vsmem_tE.num_vgpr, 21
	.set _ZN7rocprim17ROCPRIM_304000_NS6detail35device_block_merge_mergepath_kernelINS1_37wrapped_merge_sort_block_merge_configINS0_14default_configEiN2at4cuda3cub6detail10OpaqueTypeILi4EEEEEPiSC_PSA_SD_jNS1_19radix_merge_compareILb0ELb0EiNS0_19identity_decomposerEEEEEvT0_T1_T2_T3_T4_SL_jT5_PKSL_NS1_7vsmem_tE.num_agpr, 0
	.set _ZN7rocprim17ROCPRIM_304000_NS6detail35device_block_merge_mergepath_kernelINS1_37wrapped_merge_sort_block_merge_configINS0_14default_configEiN2at4cuda3cub6detail10OpaqueTypeILi4EEEEEPiSC_PSA_SD_jNS1_19radix_merge_compareILb0ELb0EiNS0_19identity_decomposerEEEEEvT0_T1_T2_T3_T4_SL_jT5_PKSL_NS1_7vsmem_tE.numbered_sgpr, 36
	.set _ZN7rocprim17ROCPRIM_304000_NS6detail35device_block_merge_mergepath_kernelINS1_37wrapped_merge_sort_block_merge_configINS0_14default_configEiN2at4cuda3cub6detail10OpaqueTypeILi4EEEEEPiSC_PSA_SD_jNS1_19radix_merge_compareILb0ELb0EiNS0_19identity_decomposerEEEEEvT0_T1_T2_T3_T4_SL_jT5_PKSL_NS1_7vsmem_tE.num_named_barrier, 0
	.set _ZN7rocprim17ROCPRIM_304000_NS6detail35device_block_merge_mergepath_kernelINS1_37wrapped_merge_sort_block_merge_configINS0_14default_configEiN2at4cuda3cub6detail10OpaqueTypeILi4EEEEEPiSC_PSA_SD_jNS1_19radix_merge_compareILb0ELb0EiNS0_19identity_decomposerEEEEEvT0_T1_T2_T3_T4_SL_jT5_PKSL_NS1_7vsmem_tE.private_seg_size, 0
	.set _ZN7rocprim17ROCPRIM_304000_NS6detail35device_block_merge_mergepath_kernelINS1_37wrapped_merge_sort_block_merge_configINS0_14default_configEiN2at4cuda3cub6detail10OpaqueTypeILi4EEEEEPiSC_PSA_SD_jNS1_19radix_merge_compareILb0ELb0EiNS0_19identity_decomposerEEEEEvT0_T1_T2_T3_T4_SL_jT5_PKSL_NS1_7vsmem_tE.uses_vcc, 1
	.set _ZN7rocprim17ROCPRIM_304000_NS6detail35device_block_merge_mergepath_kernelINS1_37wrapped_merge_sort_block_merge_configINS0_14default_configEiN2at4cuda3cub6detail10OpaqueTypeILi4EEEEEPiSC_PSA_SD_jNS1_19radix_merge_compareILb0ELb0EiNS0_19identity_decomposerEEEEEvT0_T1_T2_T3_T4_SL_jT5_PKSL_NS1_7vsmem_tE.uses_flat_scratch, 0
	.set _ZN7rocprim17ROCPRIM_304000_NS6detail35device_block_merge_mergepath_kernelINS1_37wrapped_merge_sort_block_merge_configINS0_14default_configEiN2at4cuda3cub6detail10OpaqueTypeILi4EEEEEPiSC_PSA_SD_jNS1_19radix_merge_compareILb0ELb0EiNS0_19identity_decomposerEEEEEvT0_T1_T2_T3_T4_SL_jT5_PKSL_NS1_7vsmem_tE.has_dyn_sized_stack, 0
	.set _ZN7rocprim17ROCPRIM_304000_NS6detail35device_block_merge_mergepath_kernelINS1_37wrapped_merge_sort_block_merge_configINS0_14default_configEiN2at4cuda3cub6detail10OpaqueTypeILi4EEEEEPiSC_PSA_SD_jNS1_19radix_merge_compareILb0ELb0EiNS0_19identity_decomposerEEEEEvT0_T1_T2_T3_T4_SL_jT5_PKSL_NS1_7vsmem_tE.has_recursion, 0
	.set _ZN7rocprim17ROCPRIM_304000_NS6detail35device_block_merge_mergepath_kernelINS1_37wrapped_merge_sort_block_merge_configINS0_14default_configEiN2at4cuda3cub6detail10OpaqueTypeILi4EEEEEPiSC_PSA_SD_jNS1_19radix_merge_compareILb0ELb0EiNS0_19identity_decomposerEEEEEvT0_T1_T2_T3_T4_SL_jT5_PKSL_NS1_7vsmem_tE.has_indirect_call, 0
	.section	.AMDGPU.csdata,"",@progbits
; Kernel info:
; codeLenInByte = 2976
; TotalNumSgprs: 42
; NumVgprs: 21
; NumAgprs: 0
; TotalNumVgprs: 21
; ScratchSize: 0
; MemoryBound: 0
; FloatMode: 240
; IeeeMode: 1
; LDSByteSize: 4224 bytes/workgroup (compile time only)
; SGPRBlocks: 5
; VGPRBlocks: 2
; NumSGPRsForWavesPerEU: 42
; NumVGPRsForWavesPerEU: 21
; AccumOffset: 24
; Occupancy: 8
; WaveLimiterHint : 1
; COMPUTE_PGM_RSRC2:SCRATCH_EN: 0
; COMPUTE_PGM_RSRC2:USER_SGPR: 2
; COMPUTE_PGM_RSRC2:TRAP_HANDLER: 0
; COMPUTE_PGM_RSRC2:TGID_X_EN: 1
; COMPUTE_PGM_RSRC2:TGID_Y_EN: 1
; COMPUTE_PGM_RSRC2:TGID_Z_EN: 1
; COMPUTE_PGM_RSRC2:TIDIG_COMP_CNT: 0
; COMPUTE_PGM_RSRC3_GFX90A:ACCUM_OFFSET: 5
; COMPUTE_PGM_RSRC3_GFX90A:TG_SPLIT: 0
	.section	.text._ZN7rocprim17ROCPRIM_304000_NS6detail33device_block_merge_oddeven_kernelINS1_37wrapped_merge_sort_block_merge_configINS0_14default_configEiN2at4cuda3cub6detail10OpaqueTypeILi4EEEEEPiSC_PSA_SD_jNS1_19radix_merge_compareILb0ELb0EiNS0_19identity_decomposerEEEEEvT0_T1_T2_T3_T4_SL_T5_,"axG",@progbits,_ZN7rocprim17ROCPRIM_304000_NS6detail33device_block_merge_oddeven_kernelINS1_37wrapped_merge_sort_block_merge_configINS0_14default_configEiN2at4cuda3cub6detail10OpaqueTypeILi4EEEEEPiSC_PSA_SD_jNS1_19radix_merge_compareILb0ELb0EiNS0_19identity_decomposerEEEEEvT0_T1_T2_T3_T4_SL_T5_,comdat
	.protected	_ZN7rocprim17ROCPRIM_304000_NS6detail33device_block_merge_oddeven_kernelINS1_37wrapped_merge_sort_block_merge_configINS0_14default_configEiN2at4cuda3cub6detail10OpaqueTypeILi4EEEEEPiSC_PSA_SD_jNS1_19radix_merge_compareILb0ELb0EiNS0_19identity_decomposerEEEEEvT0_T1_T2_T3_T4_SL_T5_ ; -- Begin function _ZN7rocprim17ROCPRIM_304000_NS6detail33device_block_merge_oddeven_kernelINS1_37wrapped_merge_sort_block_merge_configINS0_14default_configEiN2at4cuda3cub6detail10OpaqueTypeILi4EEEEEPiSC_PSA_SD_jNS1_19radix_merge_compareILb0ELb0EiNS0_19identity_decomposerEEEEEvT0_T1_T2_T3_T4_SL_T5_
	.globl	_ZN7rocprim17ROCPRIM_304000_NS6detail33device_block_merge_oddeven_kernelINS1_37wrapped_merge_sort_block_merge_configINS0_14default_configEiN2at4cuda3cub6detail10OpaqueTypeILi4EEEEEPiSC_PSA_SD_jNS1_19radix_merge_compareILb0ELb0EiNS0_19identity_decomposerEEEEEvT0_T1_T2_T3_T4_SL_T5_
	.p2align	8
	.type	_ZN7rocprim17ROCPRIM_304000_NS6detail33device_block_merge_oddeven_kernelINS1_37wrapped_merge_sort_block_merge_configINS0_14default_configEiN2at4cuda3cub6detail10OpaqueTypeILi4EEEEEPiSC_PSA_SD_jNS1_19radix_merge_compareILb0ELb0EiNS0_19identity_decomposerEEEEEvT0_T1_T2_T3_T4_SL_T5_,@function
_ZN7rocprim17ROCPRIM_304000_NS6detail33device_block_merge_oddeven_kernelINS1_37wrapped_merge_sort_block_merge_configINS0_14default_configEiN2at4cuda3cub6detail10OpaqueTypeILi4EEEEEPiSC_PSA_SD_jNS1_19radix_merge_compareILb0ELb0EiNS0_19identity_decomposerEEEEEvT0_T1_T2_T3_T4_SL_T5_: ; @_ZN7rocprim17ROCPRIM_304000_NS6detail33device_block_merge_oddeven_kernelINS1_37wrapped_merge_sort_block_merge_configINS0_14default_configEiN2at4cuda3cub6detail10OpaqueTypeILi4EEEEEPiSC_PSA_SD_jNS1_19radix_merge_compareILb0ELb0EiNS0_19identity_decomposerEEEEEvT0_T1_T2_T3_T4_SL_T5_
; %bb.0:
	s_load_dwordx2 s[16:17], s[0:1], 0x20
	s_waitcnt lgkmcnt(0)
	s_lshr_b32 s3, s16, 8
	s_cmp_eq_u32 s2, s3
	s_cselect_b64 s[6:7], -1, 0
	s_cmp_lg_u32 s2, s3
	s_cselect_b64 s[8:9], -1, 0
	s_lshl_b32 s18, s2, 8
	s_sub_i32 s3, s16, s18
	v_cmp_gt_u32_e64 s[4:5], s3, v0
	s_or_b64 s[8:9], s[8:9], s[4:5]
	s_and_saveexec_b64 s[10:11], s[8:9]
	s_cbranch_execz .LBB19_24
; %bb.1:
	s_load_dwordx8 s[8:15], s[0:1], 0x0
	s_mov_b32 s19, 0
	s_lshl_b64 s[0:1], s[18:19], 2
	v_lshlrev_b32_e32 v1, 2, v0
	v_add_u32_e32 v0, s18, v0
	s_waitcnt lgkmcnt(0)
	s_add_u32 s20, s8, s0
	s_addc_u32 s21, s9, s1
	s_add_u32 s0, s12, s0
	s_addc_u32 s1, s13, s1
	global_load_dword v2, v1, s[0:1]
	global_load_dword v3, v1, s[20:21]
	s_lshr_b32 s0, s17, 8
	s_sub_i32 s1, 0, s0
	s_and_b32 s1, s2, s1
	s_and_b32 s0, s1, s0
	s_lshl_b32 s19, s1, 8
	s_sub_i32 s12, 0, s17
	s_cmp_eq_u32 s0, 0
	s_cselect_b64 s[0:1], -1, 0
	s_and_b64 s[2:3], s[0:1], exec
	s_cselect_b32 s12, s17, s12
	s_add_i32 s12, s12, s19
	s_mov_b64 s[2:3], -1
	s_cmp_gt_u32 s16, s12
	s_cbranch_scc1 .LBB19_9
; %bb.2:
	s_and_b64 vcc, exec, s[6:7]
	s_cbranch_vccz .LBB19_6
; %bb.3:
	v_cmp_gt_u32_e32 vcc, s16, v0
	s_and_saveexec_b64 s[2:3], vcc
	s_cbranch_execz .LBB19_5
; %bb.4:
	v_mov_b32_e32 v1, 0
	v_lshlrev_b64 v[4:5], 2, v[0:1]
	v_lshl_add_u64 v[6:7], s[14:15], 0, v[4:5]
	v_lshl_add_u64 v[4:5], s[10:11], 0, v[4:5]
	s_waitcnt vmcnt(0)
	global_store_dword v[4:5], v3, off
	global_store_dword v[6:7], v2, off
.LBB19_5:
	s_or_b64 exec, exec, s[2:3]
	s_mov_b64 s[2:3], 0
.LBB19_6:
	s_andn2_b64 vcc, exec, s[2:3]
	s_cbranch_vccnz .LBB19_8
; %bb.7:
	v_mov_b32_e32 v1, 0
	v_lshlrev_b64 v[4:5], 2, v[0:1]
	v_lshl_add_u64 v[6:7], s[10:11], 0, v[4:5]
	v_lshl_add_u64 v[4:5], s[14:15], 0, v[4:5]
	s_waitcnt vmcnt(0)
	global_store_dword v[6:7], v3, off
	global_store_dword v[4:5], v2, off
.LBB19_8:
	s_mov_b64 s[2:3], 0
.LBB19_9:
	s_andn2_b64 vcc, exec, s[2:3]
	s_cbranch_vccnz .LBB19_24
; %bb.10:
	s_min_u32 s13, s12, s16
	s_add_i32 s2, s13, s17
	s_min_u32 s16, s2, s16
	s_min_u32 s2, s19, s13
	s_add_i32 s19, s19, s13
	v_subrev_u32_e32 v0, s19, v0
	v_add_u32_e32 v4, s2, v0
	s_andn2_b64 vcc, exec, s[6:7]
	s_mov_b64 s[2:3], -1
	s_cbranch_vccnz .LBB19_18
; %bb.11:
	s_and_saveexec_b64 s[2:3], s[4:5]
	s_cbranch_execz .LBB19_17
; %bb.12:
	s_cmp_ge_u32 s12, s16
	v_mov_b32_e32 v5, s13
	s_cbranch_scc1 .LBB19_16
; %bb.13:
	s_mov_b64 s[4:5], 0
	v_mov_b32_e32 v6, s16
	v_mov_b32_e32 v5, s13
	;; [unrolled: 1-line block ×3, first 2 shown]
.LBB19_14:                              ; =>This Inner Loop Header: Depth=1
	v_add_u32_e32 v0, v5, v6
	v_lshrrev_b32_e32 v0, 1, v0
	v_lshl_add_u64 v[8:9], v[0:1], 2, s[8:9]
	global_load_dword v7, v[8:9], off
	v_add_u32_e32 v8, 1, v0
	s_waitcnt vmcnt(0)
	v_cmp_gt_i32_e32 vcc, v3, v7
	s_nop 1
	v_cndmask_b32_e64 v9, 0, 1, vcc
	v_cmp_le_i32_e32 vcc, v7, v3
	s_nop 1
	v_cndmask_b32_e64 v7, 0, 1, vcc
	v_cndmask_b32_e64 v7, v7, v9, s[0:1]
	v_and_b32_e32 v7, 1, v7
	v_cmp_eq_u32_e32 vcc, 1, v7
	s_nop 1
	v_cndmask_b32_e32 v6, v0, v6, vcc
	v_cndmask_b32_e32 v5, v5, v8, vcc
	v_cmp_ge_u32_e32 vcc, v5, v6
	s_or_b64 s[4:5], vcc, s[4:5]
	s_andn2_b64 exec, exec, s[4:5]
	s_cbranch_execnz .LBB19_14
; %bb.15:
	s_or_b64 exec, exec, s[4:5]
.LBB19_16:
	v_add_u32_e32 v0, v5, v4
	v_mov_b32_e32 v1, 0
	v_lshlrev_b64 v[0:1], 2, v[0:1]
	v_lshl_add_u64 v[6:7], s[10:11], 0, v[0:1]
	v_lshl_add_u64 v[0:1], s[14:15], 0, v[0:1]
	s_waitcnt vmcnt(0)
	global_store_dword v[6:7], v3, off
	global_store_dword v[0:1], v2, off
.LBB19_17:
	s_or_b64 exec, exec, s[2:3]
	s_mov_b64 s[2:3], 0
.LBB19_18:
	s_andn2_b64 vcc, exec, s[2:3]
	s_cbranch_vccnz .LBB19_24
; %bb.19:
	s_cmp_ge_u32 s12, s16
	v_mov_b32_e32 v5, s13
	s_cbranch_scc1 .LBB19_23
; %bb.20:
	s_mov_b64 s[2:3], 0
	v_mov_b32_e32 v6, s16
	v_mov_b32_e32 v5, s13
	;; [unrolled: 1-line block ×3, first 2 shown]
.LBB19_21:                              ; =>This Inner Loop Header: Depth=1
	v_add_u32_e32 v0, v5, v6
	v_lshrrev_b32_e32 v0, 1, v0
	v_lshl_add_u64 v[8:9], v[0:1], 2, s[8:9]
	global_load_dword v7, v[8:9], off
	v_add_u32_e32 v8, 1, v0
	s_waitcnt vmcnt(0)
	v_cmp_gt_i32_e32 vcc, v3, v7
	s_nop 1
	v_cndmask_b32_e64 v9, 0, 1, vcc
	v_cmp_le_i32_e32 vcc, v7, v3
	s_nop 1
	v_cndmask_b32_e64 v7, 0, 1, vcc
	v_cndmask_b32_e64 v7, v7, v9, s[0:1]
	v_and_b32_e32 v7, 1, v7
	v_cmp_eq_u32_e32 vcc, 1, v7
	s_nop 1
	v_cndmask_b32_e32 v6, v0, v6, vcc
	v_cndmask_b32_e32 v5, v5, v8, vcc
	v_cmp_ge_u32_e32 vcc, v5, v6
	s_or_b64 s[2:3], vcc, s[2:3]
	s_andn2_b64 exec, exec, s[2:3]
	s_cbranch_execnz .LBB19_21
; %bb.22:
	s_or_b64 exec, exec, s[2:3]
.LBB19_23:
	v_add_u32_e32 v0, v5, v4
	v_mov_b32_e32 v1, 0
	v_lshlrev_b64 v[0:1], 2, v[0:1]
	v_lshl_add_u64 v[4:5], s[10:11], 0, v[0:1]
	v_lshl_add_u64 v[0:1], s[14:15], 0, v[0:1]
	s_waitcnt vmcnt(0)
	global_store_dword v[4:5], v3, off
	global_store_dword v[0:1], v2, off
.LBB19_24:
	s_endpgm
	.section	.rodata,"a",@progbits
	.p2align	6, 0x0
	.amdhsa_kernel _ZN7rocprim17ROCPRIM_304000_NS6detail33device_block_merge_oddeven_kernelINS1_37wrapped_merge_sort_block_merge_configINS0_14default_configEiN2at4cuda3cub6detail10OpaqueTypeILi4EEEEEPiSC_PSA_SD_jNS1_19radix_merge_compareILb0ELb0EiNS0_19identity_decomposerEEEEEvT0_T1_T2_T3_T4_SL_T5_
		.amdhsa_group_segment_fixed_size 0
		.amdhsa_private_segment_fixed_size 0
		.amdhsa_kernarg_size 44
		.amdhsa_user_sgpr_count 2
		.amdhsa_user_sgpr_dispatch_ptr 0
		.amdhsa_user_sgpr_queue_ptr 0
		.amdhsa_user_sgpr_kernarg_segment_ptr 1
		.amdhsa_user_sgpr_dispatch_id 0
		.amdhsa_user_sgpr_kernarg_preload_length 0
		.amdhsa_user_sgpr_kernarg_preload_offset 0
		.amdhsa_user_sgpr_private_segment_size 0
		.amdhsa_uses_dynamic_stack 0
		.amdhsa_enable_private_segment 0
		.amdhsa_system_sgpr_workgroup_id_x 1
		.amdhsa_system_sgpr_workgroup_id_y 0
		.amdhsa_system_sgpr_workgroup_id_z 0
		.amdhsa_system_sgpr_workgroup_info 0
		.amdhsa_system_vgpr_workitem_id 0
		.amdhsa_next_free_vgpr 10
		.amdhsa_next_free_sgpr 22
		.amdhsa_accum_offset 12
		.amdhsa_reserve_vcc 1
		.amdhsa_float_round_mode_32 0
		.amdhsa_float_round_mode_16_64 0
		.amdhsa_float_denorm_mode_32 3
		.amdhsa_float_denorm_mode_16_64 3
		.amdhsa_dx10_clamp 1
		.amdhsa_ieee_mode 1
		.amdhsa_fp16_overflow 0
		.amdhsa_tg_split 0
		.amdhsa_exception_fp_ieee_invalid_op 0
		.amdhsa_exception_fp_denorm_src 0
		.amdhsa_exception_fp_ieee_div_zero 0
		.amdhsa_exception_fp_ieee_overflow 0
		.amdhsa_exception_fp_ieee_underflow 0
		.amdhsa_exception_fp_ieee_inexact 0
		.amdhsa_exception_int_div_zero 0
	.end_amdhsa_kernel
	.section	.text._ZN7rocprim17ROCPRIM_304000_NS6detail33device_block_merge_oddeven_kernelINS1_37wrapped_merge_sort_block_merge_configINS0_14default_configEiN2at4cuda3cub6detail10OpaqueTypeILi4EEEEEPiSC_PSA_SD_jNS1_19radix_merge_compareILb0ELb0EiNS0_19identity_decomposerEEEEEvT0_T1_T2_T3_T4_SL_T5_,"axG",@progbits,_ZN7rocprim17ROCPRIM_304000_NS6detail33device_block_merge_oddeven_kernelINS1_37wrapped_merge_sort_block_merge_configINS0_14default_configEiN2at4cuda3cub6detail10OpaqueTypeILi4EEEEEPiSC_PSA_SD_jNS1_19radix_merge_compareILb0ELb0EiNS0_19identity_decomposerEEEEEvT0_T1_T2_T3_T4_SL_T5_,comdat
.Lfunc_end19:
	.size	_ZN7rocprim17ROCPRIM_304000_NS6detail33device_block_merge_oddeven_kernelINS1_37wrapped_merge_sort_block_merge_configINS0_14default_configEiN2at4cuda3cub6detail10OpaqueTypeILi4EEEEEPiSC_PSA_SD_jNS1_19radix_merge_compareILb0ELb0EiNS0_19identity_decomposerEEEEEvT0_T1_T2_T3_T4_SL_T5_, .Lfunc_end19-_ZN7rocprim17ROCPRIM_304000_NS6detail33device_block_merge_oddeven_kernelINS1_37wrapped_merge_sort_block_merge_configINS0_14default_configEiN2at4cuda3cub6detail10OpaqueTypeILi4EEEEEPiSC_PSA_SD_jNS1_19radix_merge_compareILb0ELb0EiNS0_19identity_decomposerEEEEEvT0_T1_T2_T3_T4_SL_T5_
                                        ; -- End function
	.set _ZN7rocprim17ROCPRIM_304000_NS6detail33device_block_merge_oddeven_kernelINS1_37wrapped_merge_sort_block_merge_configINS0_14default_configEiN2at4cuda3cub6detail10OpaqueTypeILi4EEEEEPiSC_PSA_SD_jNS1_19radix_merge_compareILb0ELb0EiNS0_19identity_decomposerEEEEEvT0_T1_T2_T3_T4_SL_T5_.num_vgpr, 10
	.set _ZN7rocprim17ROCPRIM_304000_NS6detail33device_block_merge_oddeven_kernelINS1_37wrapped_merge_sort_block_merge_configINS0_14default_configEiN2at4cuda3cub6detail10OpaqueTypeILi4EEEEEPiSC_PSA_SD_jNS1_19radix_merge_compareILb0ELb0EiNS0_19identity_decomposerEEEEEvT0_T1_T2_T3_T4_SL_T5_.num_agpr, 0
	.set _ZN7rocprim17ROCPRIM_304000_NS6detail33device_block_merge_oddeven_kernelINS1_37wrapped_merge_sort_block_merge_configINS0_14default_configEiN2at4cuda3cub6detail10OpaqueTypeILi4EEEEEPiSC_PSA_SD_jNS1_19radix_merge_compareILb0ELb0EiNS0_19identity_decomposerEEEEEvT0_T1_T2_T3_T4_SL_T5_.numbered_sgpr, 22
	.set _ZN7rocprim17ROCPRIM_304000_NS6detail33device_block_merge_oddeven_kernelINS1_37wrapped_merge_sort_block_merge_configINS0_14default_configEiN2at4cuda3cub6detail10OpaqueTypeILi4EEEEEPiSC_PSA_SD_jNS1_19radix_merge_compareILb0ELb0EiNS0_19identity_decomposerEEEEEvT0_T1_T2_T3_T4_SL_T5_.num_named_barrier, 0
	.set _ZN7rocprim17ROCPRIM_304000_NS6detail33device_block_merge_oddeven_kernelINS1_37wrapped_merge_sort_block_merge_configINS0_14default_configEiN2at4cuda3cub6detail10OpaqueTypeILi4EEEEEPiSC_PSA_SD_jNS1_19radix_merge_compareILb0ELb0EiNS0_19identity_decomposerEEEEEvT0_T1_T2_T3_T4_SL_T5_.private_seg_size, 0
	.set _ZN7rocprim17ROCPRIM_304000_NS6detail33device_block_merge_oddeven_kernelINS1_37wrapped_merge_sort_block_merge_configINS0_14default_configEiN2at4cuda3cub6detail10OpaqueTypeILi4EEEEEPiSC_PSA_SD_jNS1_19radix_merge_compareILb0ELb0EiNS0_19identity_decomposerEEEEEvT0_T1_T2_T3_T4_SL_T5_.uses_vcc, 1
	.set _ZN7rocprim17ROCPRIM_304000_NS6detail33device_block_merge_oddeven_kernelINS1_37wrapped_merge_sort_block_merge_configINS0_14default_configEiN2at4cuda3cub6detail10OpaqueTypeILi4EEEEEPiSC_PSA_SD_jNS1_19radix_merge_compareILb0ELb0EiNS0_19identity_decomposerEEEEEvT0_T1_T2_T3_T4_SL_T5_.uses_flat_scratch, 0
	.set _ZN7rocprim17ROCPRIM_304000_NS6detail33device_block_merge_oddeven_kernelINS1_37wrapped_merge_sort_block_merge_configINS0_14default_configEiN2at4cuda3cub6detail10OpaqueTypeILi4EEEEEPiSC_PSA_SD_jNS1_19radix_merge_compareILb0ELb0EiNS0_19identity_decomposerEEEEEvT0_T1_T2_T3_T4_SL_T5_.has_dyn_sized_stack, 0
	.set _ZN7rocprim17ROCPRIM_304000_NS6detail33device_block_merge_oddeven_kernelINS1_37wrapped_merge_sort_block_merge_configINS0_14default_configEiN2at4cuda3cub6detail10OpaqueTypeILi4EEEEEPiSC_PSA_SD_jNS1_19radix_merge_compareILb0ELb0EiNS0_19identity_decomposerEEEEEvT0_T1_T2_T3_T4_SL_T5_.has_recursion, 0
	.set _ZN7rocprim17ROCPRIM_304000_NS6detail33device_block_merge_oddeven_kernelINS1_37wrapped_merge_sort_block_merge_configINS0_14default_configEiN2at4cuda3cub6detail10OpaqueTypeILi4EEEEEPiSC_PSA_SD_jNS1_19radix_merge_compareILb0ELb0EiNS0_19identity_decomposerEEEEEvT0_T1_T2_T3_T4_SL_T5_.has_indirect_call, 0
	.section	.AMDGPU.csdata,"",@progbits
; Kernel info:
; codeLenInByte = 772
; TotalNumSgprs: 28
; NumVgprs: 10
; NumAgprs: 0
; TotalNumVgprs: 10
; ScratchSize: 0
; MemoryBound: 0
; FloatMode: 240
; IeeeMode: 1
; LDSByteSize: 0 bytes/workgroup (compile time only)
; SGPRBlocks: 3
; VGPRBlocks: 1
; NumSGPRsForWavesPerEU: 28
; NumVGPRsForWavesPerEU: 10
; AccumOffset: 12
; Occupancy: 8
; WaveLimiterHint : 0
; COMPUTE_PGM_RSRC2:SCRATCH_EN: 0
; COMPUTE_PGM_RSRC2:USER_SGPR: 2
; COMPUTE_PGM_RSRC2:TRAP_HANDLER: 0
; COMPUTE_PGM_RSRC2:TGID_X_EN: 1
; COMPUTE_PGM_RSRC2:TGID_Y_EN: 0
; COMPUTE_PGM_RSRC2:TGID_Z_EN: 0
; COMPUTE_PGM_RSRC2:TIDIG_COMP_CNT: 0
; COMPUTE_PGM_RSRC3_GFX90A:ACCUM_OFFSET: 2
; COMPUTE_PGM_RSRC3_GFX90A:TG_SPLIT: 0
	.section	.text._ZN7rocprim17ROCPRIM_304000_NS6detail45device_block_merge_mergepath_partition_kernelINS1_37wrapped_merge_sort_block_merge_configINS0_14default_configEiN2at4cuda3cub6detail10OpaqueTypeILi4EEEEEPijNS1_19radix_merge_compareILb0ELb1EiNS0_19identity_decomposerEEEEEvT0_T1_jPSH_T2_SH_,"axG",@progbits,_ZN7rocprim17ROCPRIM_304000_NS6detail45device_block_merge_mergepath_partition_kernelINS1_37wrapped_merge_sort_block_merge_configINS0_14default_configEiN2at4cuda3cub6detail10OpaqueTypeILi4EEEEEPijNS1_19radix_merge_compareILb0ELb1EiNS0_19identity_decomposerEEEEEvT0_T1_jPSH_T2_SH_,comdat
	.protected	_ZN7rocprim17ROCPRIM_304000_NS6detail45device_block_merge_mergepath_partition_kernelINS1_37wrapped_merge_sort_block_merge_configINS0_14default_configEiN2at4cuda3cub6detail10OpaqueTypeILi4EEEEEPijNS1_19radix_merge_compareILb0ELb1EiNS0_19identity_decomposerEEEEEvT0_T1_jPSH_T2_SH_ ; -- Begin function _ZN7rocprim17ROCPRIM_304000_NS6detail45device_block_merge_mergepath_partition_kernelINS1_37wrapped_merge_sort_block_merge_configINS0_14default_configEiN2at4cuda3cub6detail10OpaqueTypeILi4EEEEEPijNS1_19radix_merge_compareILb0ELb1EiNS0_19identity_decomposerEEEEEvT0_T1_jPSH_T2_SH_
	.globl	_ZN7rocprim17ROCPRIM_304000_NS6detail45device_block_merge_mergepath_partition_kernelINS1_37wrapped_merge_sort_block_merge_configINS0_14default_configEiN2at4cuda3cub6detail10OpaqueTypeILi4EEEEEPijNS1_19radix_merge_compareILb0ELb1EiNS0_19identity_decomposerEEEEEvT0_T1_jPSH_T2_SH_
	.p2align	8
	.type	_ZN7rocprim17ROCPRIM_304000_NS6detail45device_block_merge_mergepath_partition_kernelINS1_37wrapped_merge_sort_block_merge_configINS0_14default_configEiN2at4cuda3cub6detail10OpaqueTypeILi4EEEEEPijNS1_19radix_merge_compareILb0ELb1EiNS0_19identity_decomposerEEEEEvT0_T1_jPSH_T2_SH_,@function
_ZN7rocprim17ROCPRIM_304000_NS6detail45device_block_merge_mergepath_partition_kernelINS1_37wrapped_merge_sort_block_merge_configINS0_14default_configEiN2at4cuda3cub6detail10OpaqueTypeILi4EEEEEPijNS1_19radix_merge_compareILb0ELb1EiNS0_19identity_decomposerEEEEEvT0_T1_jPSH_T2_SH_: ; @_ZN7rocprim17ROCPRIM_304000_NS6detail45device_block_merge_mergepath_partition_kernelINS1_37wrapped_merge_sort_block_merge_configINS0_14default_configEiN2at4cuda3cub6detail10OpaqueTypeILi4EEEEEPijNS1_19radix_merge_compareILb0ELb1EiNS0_19identity_decomposerEEEEEvT0_T1_jPSH_T2_SH_
; %bb.0:
	s_load_dwordx2 s[4:5], s[0:1], 0x8
	v_lshl_or_b32 v0, s2, 7, v0
	s_waitcnt lgkmcnt(0)
	v_cmp_gt_u32_e32 vcc, s5, v0
	s_and_saveexec_b64 s[2:3], vcc
	s_cbranch_execz .LBB20_6
; %bb.1:
	s_load_dwordx2 s[2:3], s[0:1], 0x18
	s_waitcnt lgkmcnt(0)
	s_lshr_b32 s5, s3, 9
	s_and_b32 s5, s5, 0x7ffffe
	s_add_i32 s6, s5, -1
	s_sub_i32 s5, 0, s5
	v_and_b32_e32 v1, s5, v0
	v_and_b32_e32 v2, s6, v0
	v_lshlrev_b32_e32 v1, 10, v1
	v_lshlrev_b32_e32 v3, 10, v2
	v_min_u32_e32 v2, s4, v1
	v_add_u32_e32 v1, s3, v1
	v_min_u32_e32 v4, s4, v1
	v_add_u32_e32 v1, s3, v4
	v_min_u32_e32 v1, s4, v1
	v_sub_u32_e32 v5, v1, v2
	v_min_u32_e32 v10, v5, v3
	v_sub_u32_e32 v3, v4, v2
	v_sub_u32_e32 v1, v1, v4
	v_sub_u32_e64 v1, v10, v1 clamp
	v_min_u32_e32 v11, v10, v3
	v_cmp_lt_u32_e32 vcc, v1, v11
	s_and_saveexec_b64 s[4:5], vcc
	s_cbranch_execz .LBB20_5
; %bb.2:
	s_load_dwordx2 s[6:7], s[0:1], 0x0
	v_mov_b32_e32 v5, 0
	v_mov_b32_e32 v3, v5
	s_waitcnt lgkmcnt(0)
	v_lshl_add_u64 v[6:7], v[2:3], 2, s[6:7]
	v_lshl_add_u64 v[8:9], v[4:5], 2, s[6:7]
	s_mov_b64 s[6:7], 0
.LBB20_3:                               ; =>This Inner Loop Header: Depth=1
	v_add_u32_e32 v3, v11, v1
	v_lshrrev_b32_e32 v4, 1, v3
	v_mov_b32_e32 v13, v5
	v_xad_u32 v12, v4, -1, v10
	v_lshl_add_u64 v[14:15], v[4:5], 2, v[6:7]
	v_lshl_add_u64 v[12:13], v[12:13], 2, v[8:9]
	global_load_dword v3, v[14:15], off
	global_load_dword v16, v[12:13], off
	v_add_u32_e32 v12, 1, v4
	s_waitcnt vmcnt(1)
	v_and_b32_e32 v3, s2, v3
	s_waitcnt vmcnt(0)
	v_and_b32_e32 v13, s2, v16
	v_cmp_gt_i32_e32 vcc, v3, v13
	s_nop 1
	v_cndmask_b32_e32 v11, v11, v4, vcc
	v_cndmask_b32_e32 v1, v12, v1, vcc
	v_cmp_ge_u32_e32 vcc, v1, v11
	s_or_b64 s[6:7], vcc, s[6:7]
	s_andn2_b64 exec, exec, s[6:7]
	s_cbranch_execnz .LBB20_3
; %bb.4:
	s_or_b64 exec, exec, s[6:7]
.LBB20_5:
	s_or_b64 exec, exec, s[4:5]
	s_load_dwordx2 s[0:1], s[0:1], 0x10
	v_add_u32_e32 v2, v1, v2
	v_mov_b32_e32 v1, 0
	s_waitcnt lgkmcnt(0)
	v_lshl_add_u64 v[0:1], v[0:1], 2, s[0:1]
	global_store_dword v[0:1], v2, off
.LBB20_6:
	s_endpgm
	.section	.rodata,"a",@progbits
	.p2align	6, 0x0
	.amdhsa_kernel _ZN7rocprim17ROCPRIM_304000_NS6detail45device_block_merge_mergepath_partition_kernelINS1_37wrapped_merge_sort_block_merge_configINS0_14default_configEiN2at4cuda3cub6detail10OpaqueTypeILi4EEEEEPijNS1_19radix_merge_compareILb0ELb1EiNS0_19identity_decomposerEEEEEvT0_T1_jPSH_T2_SH_
		.amdhsa_group_segment_fixed_size 0
		.amdhsa_private_segment_fixed_size 0
		.amdhsa_kernarg_size 32
		.amdhsa_user_sgpr_count 2
		.amdhsa_user_sgpr_dispatch_ptr 0
		.amdhsa_user_sgpr_queue_ptr 0
		.amdhsa_user_sgpr_kernarg_segment_ptr 1
		.amdhsa_user_sgpr_dispatch_id 0
		.amdhsa_user_sgpr_kernarg_preload_length 0
		.amdhsa_user_sgpr_kernarg_preload_offset 0
		.amdhsa_user_sgpr_private_segment_size 0
		.amdhsa_uses_dynamic_stack 0
		.amdhsa_enable_private_segment 0
		.amdhsa_system_sgpr_workgroup_id_x 1
		.amdhsa_system_sgpr_workgroup_id_y 0
		.amdhsa_system_sgpr_workgroup_id_z 0
		.amdhsa_system_sgpr_workgroup_info 0
		.amdhsa_system_vgpr_workitem_id 0
		.amdhsa_next_free_vgpr 17
		.amdhsa_next_free_sgpr 8
		.amdhsa_accum_offset 20
		.amdhsa_reserve_vcc 1
		.amdhsa_float_round_mode_32 0
		.amdhsa_float_round_mode_16_64 0
		.amdhsa_float_denorm_mode_32 3
		.amdhsa_float_denorm_mode_16_64 3
		.amdhsa_dx10_clamp 1
		.amdhsa_ieee_mode 1
		.amdhsa_fp16_overflow 0
		.amdhsa_tg_split 0
		.amdhsa_exception_fp_ieee_invalid_op 0
		.amdhsa_exception_fp_denorm_src 0
		.amdhsa_exception_fp_ieee_div_zero 0
		.amdhsa_exception_fp_ieee_overflow 0
		.amdhsa_exception_fp_ieee_underflow 0
		.amdhsa_exception_fp_ieee_inexact 0
		.amdhsa_exception_int_div_zero 0
	.end_amdhsa_kernel
	.section	.text._ZN7rocprim17ROCPRIM_304000_NS6detail45device_block_merge_mergepath_partition_kernelINS1_37wrapped_merge_sort_block_merge_configINS0_14default_configEiN2at4cuda3cub6detail10OpaqueTypeILi4EEEEEPijNS1_19radix_merge_compareILb0ELb1EiNS0_19identity_decomposerEEEEEvT0_T1_jPSH_T2_SH_,"axG",@progbits,_ZN7rocprim17ROCPRIM_304000_NS6detail45device_block_merge_mergepath_partition_kernelINS1_37wrapped_merge_sort_block_merge_configINS0_14default_configEiN2at4cuda3cub6detail10OpaqueTypeILi4EEEEEPijNS1_19radix_merge_compareILb0ELb1EiNS0_19identity_decomposerEEEEEvT0_T1_jPSH_T2_SH_,comdat
.Lfunc_end20:
	.size	_ZN7rocprim17ROCPRIM_304000_NS6detail45device_block_merge_mergepath_partition_kernelINS1_37wrapped_merge_sort_block_merge_configINS0_14default_configEiN2at4cuda3cub6detail10OpaqueTypeILi4EEEEEPijNS1_19radix_merge_compareILb0ELb1EiNS0_19identity_decomposerEEEEEvT0_T1_jPSH_T2_SH_, .Lfunc_end20-_ZN7rocprim17ROCPRIM_304000_NS6detail45device_block_merge_mergepath_partition_kernelINS1_37wrapped_merge_sort_block_merge_configINS0_14default_configEiN2at4cuda3cub6detail10OpaqueTypeILi4EEEEEPijNS1_19radix_merge_compareILb0ELb1EiNS0_19identity_decomposerEEEEEvT0_T1_jPSH_T2_SH_
                                        ; -- End function
	.set _ZN7rocprim17ROCPRIM_304000_NS6detail45device_block_merge_mergepath_partition_kernelINS1_37wrapped_merge_sort_block_merge_configINS0_14default_configEiN2at4cuda3cub6detail10OpaqueTypeILi4EEEEEPijNS1_19radix_merge_compareILb0ELb1EiNS0_19identity_decomposerEEEEEvT0_T1_jPSH_T2_SH_.num_vgpr, 17
	.set _ZN7rocprim17ROCPRIM_304000_NS6detail45device_block_merge_mergepath_partition_kernelINS1_37wrapped_merge_sort_block_merge_configINS0_14default_configEiN2at4cuda3cub6detail10OpaqueTypeILi4EEEEEPijNS1_19radix_merge_compareILb0ELb1EiNS0_19identity_decomposerEEEEEvT0_T1_jPSH_T2_SH_.num_agpr, 0
	.set _ZN7rocprim17ROCPRIM_304000_NS6detail45device_block_merge_mergepath_partition_kernelINS1_37wrapped_merge_sort_block_merge_configINS0_14default_configEiN2at4cuda3cub6detail10OpaqueTypeILi4EEEEEPijNS1_19radix_merge_compareILb0ELb1EiNS0_19identity_decomposerEEEEEvT0_T1_jPSH_T2_SH_.numbered_sgpr, 8
	.set _ZN7rocprim17ROCPRIM_304000_NS6detail45device_block_merge_mergepath_partition_kernelINS1_37wrapped_merge_sort_block_merge_configINS0_14default_configEiN2at4cuda3cub6detail10OpaqueTypeILi4EEEEEPijNS1_19radix_merge_compareILb0ELb1EiNS0_19identity_decomposerEEEEEvT0_T1_jPSH_T2_SH_.num_named_barrier, 0
	.set _ZN7rocprim17ROCPRIM_304000_NS6detail45device_block_merge_mergepath_partition_kernelINS1_37wrapped_merge_sort_block_merge_configINS0_14default_configEiN2at4cuda3cub6detail10OpaqueTypeILi4EEEEEPijNS1_19radix_merge_compareILb0ELb1EiNS0_19identity_decomposerEEEEEvT0_T1_jPSH_T2_SH_.private_seg_size, 0
	.set _ZN7rocprim17ROCPRIM_304000_NS6detail45device_block_merge_mergepath_partition_kernelINS1_37wrapped_merge_sort_block_merge_configINS0_14default_configEiN2at4cuda3cub6detail10OpaqueTypeILi4EEEEEPijNS1_19radix_merge_compareILb0ELb1EiNS0_19identity_decomposerEEEEEvT0_T1_jPSH_T2_SH_.uses_vcc, 1
	.set _ZN7rocprim17ROCPRIM_304000_NS6detail45device_block_merge_mergepath_partition_kernelINS1_37wrapped_merge_sort_block_merge_configINS0_14default_configEiN2at4cuda3cub6detail10OpaqueTypeILi4EEEEEPijNS1_19radix_merge_compareILb0ELb1EiNS0_19identity_decomposerEEEEEvT0_T1_jPSH_T2_SH_.uses_flat_scratch, 0
	.set _ZN7rocprim17ROCPRIM_304000_NS6detail45device_block_merge_mergepath_partition_kernelINS1_37wrapped_merge_sort_block_merge_configINS0_14default_configEiN2at4cuda3cub6detail10OpaqueTypeILi4EEEEEPijNS1_19radix_merge_compareILb0ELb1EiNS0_19identity_decomposerEEEEEvT0_T1_jPSH_T2_SH_.has_dyn_sized_stack, 0
	.set _ZN7rocprim17ROCPRIM_304000_NS6detail45device_block_merge_mergepath_partition_kernelINS1_37wrapped_merge_sort_block_merge_configINS0_14default_configEiN2at4cuda3cub6detail10OpaqueTypeILi4EEEEEPijNS1_19radix_merge_compareILb0ELb1EiNS0_19identity_decomposerEEEEEvT0_T1_jPSH_T2_SH_.has_recursion, 0
	.set _ZN7rocprim17ROCPRIM_304000_NS6detail45device_block_merge_mergepath_partition_kernelINS1_37wrapped_merge_sort_block_merge_configINS0_14default_configEiN2at4cuda3cub6detail10OpaqueTypeILi4EEEEEPijNS1_19radix_merge_compareILb0ELb1EiNS0_19identity_decomposerEEEEEvT0_T1_jPSH_T2_SH_.has_indirect_call, 0
	.section	.AMDGPU.csdata,"",@progbits
; Kernel info:
; codeLenInByte = 332
; TotalNumSgprs: 14
; NumVgprs: 17
; NumAgprs: 0
; TotalNumVgprs: 17
; ScratchSize: 0
; MemoryBound: 0
; FloatMode: 240
; IeeeMode: 1
; LDSByteSize: 0 bytes/workgroup (compile time only)
; SGPRBlocks: 1
; VGPRBlocks: 2
; NumSGPRsForWavesPerEU: 14
; NumVGPRsForWavesPerEU: 17
; AccumOffset: 20
; Occupancy: 8
; WaveLimiterHint : 0
; COMPUTE_PGM_RSRC2:SCRATCH_EN: 0
; COMPUTE_PGM_RSRC2:USER_SGPR: 2
; COMPUTE_PGM_RSRC2:TRAP_HANDLER: 0
; COMPUTE_PGM_RSRC2:TGID_X_EN: 1
; COMPUTE_PGM_RSRC2:TGID_Y_EN: 0
; COMPUTE_PGM_RSRC2:TGID_Z_EN: 0
; COMPUTE_PGM_RSRC2:TIDIG_COMP_CNT: 0
; COMPUTE_PGM_RSRC3_GFX90A:ACCUM_OFFSET: 4
; COMPUTE_PGM_RSRC3_GFX90A:TG_SPLIT: 0
	.section	.text._ZN7rocprim17ROCPRIM_304000_NS6detail35device_block_merge_mergepath_kernelINS1_37wrapped_merge_sort_block_merge_configINS0_14default_configEiN2at4cuda3cub6detail10OpaqueTypeILi4EEEEEPiSC_PSA_SD_jNS1_19radix_merge_compareILb0ELb1EiNS0_19identity_decomposerEEEEEvT0_T1_T2_T3_T4_SL_jT5_PKSL_NS1_7vsmem_tE,"axG",@progbits,_ZN7rocprim17ROCPRIM_304000_NS6detail35device_block_merge_mergepath_kernelINS1_37wrapped_merge_sort_block_merge_configINS0_14default_configEiN2at4cuda3cub6detail10OpaqueTypeILi4EEEEEPiSC_PSA_SD_jNS1_19radix_merge_compareILb0ELb1EiNS0_19identity_decomposerEEEEEvT0_T1_T2_T3_T4_SL_jT5_PKSL_NS1_7vsmem_tE,comdat
	.protected	_ZN7rocprim17ROCPRIM_304000_NS6detail35device_block_merge_mergepath_kernelINS1_37wrapped_merge_sort_block_merge_configINS0_14default_configEiN2at4cuda3cub6detail10OpaqueTypeILi4EEEEEPiSC_PSA_SD_jNS1_19radix_merge_compareILb0ELb1EiNS0_19identity_decomposerEEEEEvT0_T1_T2_T3_T4_SL_jT5_PKSL_NS1_7vsmem_tE ; -- Begin function _ZN7rocprim17ROCPRIM_304000_NS6detail35device_block_merge_mergepath_kernelINS1_37wrapped_merge_sort_block_merge_configINS0_14default_configEiN2at4cuda3cub6detail10OpaqueTypeILi4EEEEEPiSC_PSA_SD_jNS1_19radix_merge_compareILb0ELb1EiNS0_19identity_decomposerEEEEEvT0_T1_T2_T3_T4_SL_jT5_PKSL_NS1_7vsmem_tE
	.globl	_ZN7rocprim17ROCPRIM_304000_NS6detail35device_block_merge_mergepath_kernelINS1_37wrapped_merge_sort_block_merge_configINS0_14default_configEiN2at4cuda3cub6detail10OpaqueTypeILi4EEEEEPiSC_PSA_SD_jNS1_19radix_merge_compareILb0ELb1EiNS0_19identity_decomposerEEEEEvT0_T1_T2_T3_T4_SL_jT5_PKSL_NS1_7vsmem_tE
	.p2align	8
	.type	_ZN7rocprim17ROCPRIM_304000_NS6detail35device_block_merge_mergepath_kernelINS1_37wrapped_merge_sort_block_merge_configINS0_14default_configEiN2at4cuda3cub6detail10OpaqueTypeILi4EEEEEPiSC_PSA_SD_jNS1_19radix_merge_compareILb0ELb1EiNS0_19identity_decomposerEEEEEvT0_T1_T2_T3_T4_SL_jT5_PKSL_NS1_7vsmem_tE,@function
_ZN7rocprim17ROCPRIM_304000_NS6detail35device_block_merge_mergepath_kernelINS1_37wrapped_merge_sort_block_merge_configINS0_14default_configEiN2at4cuda3cub6detail10OpaqueTypeILi4EEEEEPiSC_PSA_SD_jNS1_19radix_merge_compareILb0ELb1EiNS0_19identity_decomposerEEEEEvT0_T1_T2_T3_T4_SL_jT5_PKSL_NS1_7vsmem_tE: ; @_ZN7rocprim17ROCPRIM_304000_NS6detail35device_block_merge_mergepath_kernelINS1_37wrapped_merge_sort_block_merge_configINS0_14default_configEiN2at4cuda3cub6detail10OpaqueTypeILi4EEEEEPiSC_PSA_SD_jNS1_19radix_merge_compareILb0ELb1EiNS0_19identity_decomposerEEEEEvT0_T1_T2_T3_T4_SL_jT5_PKSL_NS1_7vsmem_tE
; %bb.0:
	s_load_dwordx2 s[34:35], s[0:1], 0x40
	s_load_dwordx4 s[16:19], s[0:1], 0x20
	s_add_u32 s30, s0, 64
	s_addc_u32 s31, s1, 0
	s_waitcnt lgkmcnt(0)
	s_mul_i32 s4, s35, s4
	s_add_i32 s3, s4, s3
	s_mul_i32 s3, s3, s34
	s_add_i32 s6, s3, s2
	s_cmp_ge_u32 s6, s18
	s_cbranch_scc1 .LBB21_67
; %bb.1:
	s_load_dwordx8 s[8:15], s[0:1], 0x0
	s_load_dwordx2 s[4:5], s[0:1], 0x30
	s_lshr_b32 s36, s16, 10
	s_cmp_lg_u32 s6, s36
	s_mov_b32 s7, 0
	s_cselect_b64 s[20:21], -1, 0
	s_lshl_b64 s[0:1], s[6:7], 2
	s_waitcnt lgkmcnt(0)
	s_add_u32 s0, s4, s0
	s_addc_u32 s1, s5, s1
	s_load_dwordx2 s[22:23], s[0:1], 0x0
	s_lshr_b32 s0, s17, 9
	s_and_b32 s0, s0, 0x7ffffe
	s_sub_i32 s0, 0, s0
	s_and_b32 s1, s6, s0
	s_lshl_b32 s3, s1, 10
	s_lshl_b32 s18, s6, 10
	;; [unrolled: 1-line block ×3, first 2 shown]
	s_sub_i32 s4, s18, s3
	s_add_i32 s1, s1, s17
	s_add_i32 s4, s1, s4
	s_waitcnt lgkmcnt(0)
	s_sub_i32 s5, s4, s22
	s_sub_i32 s4, s4, s23
	s_sub_i32 s1, s1, s3
	s_min_u32 s24, s16, s5
	s_addk_i32 s4, 0x400
	s_or_b32 s0, s6, s0
	s_min_u32 s3, s16, s1
	s_add_i32 s1, s1, s17
	s_cmp_eq_u32 s0, -1
	s_cselect_b32 s0, s1, s4
	s_cselect_b32 s1, s3, s23
	s_min_u32 s0, s0, s16
	s_mov_b32 s23, s7
	s_sub_i32 s33, s1, s22
	s_sub_i32 s35, s0, s24
	s_lshl_b64 s[26:27], s[22:23], 2
	s_add_u32 s0, s8, s26
	s_mov_b32 s25, s7
	s_addc_u32 s1, s9, s27
	s_lshl_b64 s[28:29], s[24:25], 2
	s_add_u32 s4, s8, s28
	s_addc_u32 s5, s9, s29
	s_cmp_lt_u32 s2, s34
	v_mov_b32_e32 v7, 0
	s_cselect_b32 s2, 12, 18
	global_load_dword v1, v7, s[30:31] offset:14
	s_add_u32 s2, s30, s2
	s_addc_u32 s3, s31, 0
	global_load_ushort v2, v7, s[2:3]
	v_cmp_gt_u32_e32 vcc, s33, v0
	s_cmp_eq_u32 s6, s36
	v_lshlrev_b32_e32 v6, 2, v0
	s_waitcnt vmcnt(1)
	v_lshrrev_b32_e32 v3, 16, v1
	v_and_b32_e32 v1, 0xffff, v1
	v_mul_lo_u32 v1, v1, v3
	s_waitcnt vmcnt(0)
	v_mul_lo_u32 v1, v1, v2
	v_add_u32_e32 v8, v1, v0
	s_cbranch_scc1 .LBB21_3
; %bb.2:
	v_subrev_u32_e32 v4, s33, v0
	v_lshlrev_b32_e32 v4, 2, v4
	v_mov_b32_e32 v5, v7
	v_lshl_add_u64 v[2:3], s[0:1], 0, v[6:7]
	v_lshl_add_u64 v[4:5], s[4:5], 0, v[4:5]
	v_cndmask_b32_e32 v3, v5, v3, vcc
	v_cndmask_b32_e32 v2, v4, v2, vcc
	v_mov_b32_e32 v9, v7
	v_subrev_co_u32_e32 v10, vcc, s33, v8
	v_mov_b32_e32 v11, v7
	v_lshl_add_u64 v[4:5], v[8:9], 2, s[0:1]
	v_lshl_add_u64 v[10:11], v[10:11], 2, s[4:5]
	v_cndmask_b32_e32 v4, v10, v4, vcc
	v_add_u32_e32 v10, v8, v1
	v_cndmask_b32_e32 v5, v11, v5, vcc
	v_mov_b32_e32 v11, v7
	v_subrev_co_u32_e32 v12, vcc, s33, v10
	v_mov_b32_e32 v13, v7
	global_load_dword v2, v[2:3], off
	v_lshl_add_u64 v[12:13], v[12:13], 2, s[4:5]
	global_load_dword v3, v[4:5], off
	v_lshl_add_u64 v[4:5], v[10:11], 2, s[0:1]
	v_add_u32_e32 v10, v10, v1
	v_cndmask_b32_e32 v5, v13, v5, vcc
	v_cndmask_b32_e32 v4, v12, v4, vcc
	v_lshl_add_u64 v[12:13], v[10:11], 2, s[0:1]
	v_subrev_co_u32_e32 v10, vcc, s33, v10
	v_lshl_add_u64 v[10:11], v[10:11], 2, s[4:5]
	s_nop 0
	v_cndmask_b32_e32 v11, v11, v13, vcc
	v_cndmask_b32_e32 v10, v10, v12, vcc
	global_load_dword v4, v[4:5], off
	s_add_i32 s17, s35, s33
	global_load_dword v5, v[10:11], off
	s_cbranch_execz .LBB21_4
	s_branch .LBB21_13
.LBB21_3:
                                        ; implicit-def: $vgpr2_vgpr3_vgpr4_vgpr5
                                        ; implicit-def: $sgpr17
.LBB21_4:
	s_add_i32 s17, s35, s33
	s_waitcnt vmcnt(3)
	v_mov_b32_e32 v2, 0
	v_cmp_gt_u32_e32 vcc, s17, v0
	s_waitcnt vmcnt(2)
	v_mov_b32_e32 v3, v2
	s_waitcnt vmcnt(1)
	v_mov_b32_e32 v4, v2
	;; [unrolled: 2-line block ×3, first 2 shown]
	s_and_saveexec_b64 s[2:3], vcc
	s_cbranch_execz .LBB21_6
; %bb.5:
	v_subrev_u32_e32 v3, s33, v0
	v_mov_b32_e32 v7, v2
	v_lshlrev_b32_e32 v10, 2, v3
	v_mov_b32_e32 v11, v2
	v_lshl_add_u64 v[4:5], s[0:1], 0, v[6:7]
	v_lshl_add_u64 v[10:11], s[4:5], 0, v[10:11]
	v_cmp_gt_u32_e32 vcc, s33, v0
	v_mov_b32_e32 v12, v2
	v_mov_b32_e32 v13, v2
	v_cndmask_b32_e32 v5, v11, v5, vcc
	v_cndmask_b32_e32 v4, v10, v4, vcc
	global_load_dword v10, v[4:5], off
	v_mov_b32_e32 v11, v2
	s_waitcnt vmcnt(0)
	v_mov_b64_e32 v[2:3], v[10:11]
	v_mov_b64_e32 v[4:5], v[12:13]
.LBB21_6:
	s_or_b64 exec, exec, s[2:3]
	v_cmp_gt_u32_e32 vcc, s17, v8
	s_and_saveexec_b64 s[2:3], vcc
	s_cbranch_execz .LBB21_8
; %bb.7:
	v_mov_b32_e32 v9, 0
	v_subrev_co_u32_e32 v12, vcc, s33, v8
	v_mov_b32_e32 v13, v9
	v_lshl_add_u64 v[10:11], v[8:9], 2, s[0:1]
	v_lshl_add_u64 v[12:13], v[12:13], 2, s[4:5]
	v_cndmask_b32_e32 v11, v13, v11, vcc
	v_cndmask_b32_e32 v10, v12, v10, vcc
	global_load_dword v3, v[10:11], off
.LBB21_8:
	s_or_b64 exec, exec, s[2:3]
	v_add_u32_e32 v8, v8, v1
	v_cmp_gt_u32_e32 vcc, s17, v8
	s_and_saveexec_b64 s[2:3], vcc
	s_cbranch_execz .LBB21_10
; %bb.9:
	v_mov_b32_e32 v9, 0
	v_subrev_co_u32_e32 v12, vcc, s33, v8
	v_mov_b32_e32 v13, v9
	v_lshl_add_u64 v[10:11], v[8:9], 2, s[0:1]
	v_lshl_add_u64 v[12:13], v[12:13], 2, s[4:5]
	v_cndmask_b32_e32 v11, v13, v11, vcc
	v_cndmask_b32_e32 v10, v12, v10, vcc
	global_load_dword v4, v[10:11], off
.LBB21_10:
	s_or_b64 exec, exec, s[2:3]
	v_add_u32_e32 v8, v8, v1
	v_cmp_gt_u32_e32 vcc, s17, v8
	s_and_saveexec_b64 s[2:3], vcc
	s_cbranch_execz .LBB21_12
; %bb.11:
	v_mov_b32_e32 v9, 0
	v_lshl_add_u64 v[10:11], v[8:9], 2, s[0:1]
	v_subrev_co_u32_e32 v8, vcc, s33, v8
	v_lshl_add_u64 v[8:9], v[8:9], 2, s[4:5]
	s_nop 0
	v_cndmask_b32_e32 v9, v9, v11, vcc
	v_cndmask_b32_e32 v8, v8, v10, vcc
	global_load_dword v5, v[8:9], off
.LBB21_12:
	s_or_b64 exec, exec, s[2:3]
.LBB21_13:
	v_min_u32_e32 v1, s17, v6
	v_sub_u32_e64 v7, v1, s35 clamp
	v_min_u32_e32 v8, s33, v1
	v_cmp_lt_u32_e32 vcc, v7, v8
	s_waitcnt vmcnt(0)
	ds_write2st64_b32 v6, v2, v3 offset1:4
	ds_write2st64_b32 v6, v4, v5 offset0:8 offset1:12
	s_waitcnt lgkmcnt(0)
	s_barrier
	s_and_saveexec_b64 s[0:1], vcc
	s_cbranch_execz .LBB21_17
; %bb.14:
	v_lshlrev_b32_e32 v9, 2, v1
	v_lshl_add_u32 v9, s33, 2, v9
	s_mov_b64 s[2:3], 0
.LBB21_15:                              ; =>This Inner Loop Header: Depth=1
	v_add_u32_e32 v10, v8, v7
	v_lshrrev_b32_e32 v10, 1, v10
	v_not_b32_e32 v11, v10
	v_lshlrev_b32_e32 v12, 2, v10
	v_lshl_add_u32 v11, v11, 2, v9
	ds_read_b32 v12, v12
	ds_read_b32 v11, v11
	v_add_u32_e32 v13, 1, v10
	s_waitcnt lgkmcnt(1)
	v_and_b32_e32 v12, s19, v12
	s_waitcnt lgkmcnt(0)
	v_and_b32_e32 v11, s19, v11
	v_cmp_gt_i32_e32 vcc, v12, v11
	s_nop 1
	v_cndmask_b32_e32 v8, v8, v10, vcc
	v_cndmask_b32_e32 v7, v13, v7, vcc
	v_cmp_ge_u32_e32 vcc, v7, v8
	s_or_b64 s[2:3], vcc, s[2:3]
	s_andn2_b64 exec, exec, s[2:3]
	s_cbranch_execnz .LBB21_15
; %bb.16:
	s_or_b64 exec, exec, s[2:3]
.LBB21_17:
	s_or_b64 exec, exec, s[0:1]
	v_sub_u32_e32 v1, v1, v7
	v_add_u32_e32 v8, s33, v1
	v_cmp_ge_u32_e32 vcc, s33, v7
	v_cmp_ge_u32_e64 s[0:1], s17, v8
	s_or_b64 s[0:1], vcc, s[0:1]
	v_mov_b32_e32 v1, 0
	v_mov_b32_e32 v12, 0
	;; [unrolled: 1-line block ×4, first 2 shown]
	s_and_saveexec_b64 s[8:9], s[0:1]
	s_cbranch_execz .LBB21_23
; %bb.18:
	v_cmp_gt_u32_e32 vcc, s33, v7
                                        ; implicit-def: $vgpr1
	s_and_saveexec_b64 s[0:1], vcc
; %bb.19:
	v_lshlrev_b32_e32 v1, 2, v7
	ds_read_b32 v1, v1
; %bb.20:
	s_or_b64 exec, exec, s[0:1]
	v_cmp_le_u32_e64 s[0:1], s17, v8
	v_cmp_gt_u32_e64 s[2:3], s17, v8
                                        ; implicit-def: $vgpr2
	s_and_saveexec_b64 s[4:5], s[2:3]
; %bb.21:
	v_lshlrev_b32_e32 v2, 2, v8
	ds_read_b32 v2, v2
; %bb.22:
	s_or_b64 exec, exec, s[4:5]
	s_waitcnt lgkmcnt(0)
	v_and_b32_e32 v3, s19, v2
	v_and_b32_e32 v4, s19, v1
	v_cmp_le_i32_e64 s[2:3], v4, v3
	s_and_b64 s[2:3], vcc, s[2:3]
	s_or_b64 vcc, s[0:1], s[2:3]
	v_mov_b32_e32 v3, s17
	v_mov_b32_e32 v4, s33
	v_cndmask_b32_e32 v14, v8, v7, vcc
	v_cndmask_b32_e32 v5, v3, v4, vcc
	v_add_u32_e32 v9, 1, v14
	v_add_u32_e32 v5, -1, v5
	v_min_u32_e32 v5, v9, v5
	v_lshlrev_b32_e32 v5, 2, v5
	ds_read_b32 v5, v5
	v_cndmask_b32_e32 v8, v9, v8, vcc
	v_cndmask_b32_e32 v7, v7, v9, vcc
	v_cmp_gt_u32_e64 s[2:3], s33, v7
	v_cmp_le_u32_e64 s[0:1], s17, v8
	s_waitcnt lgkmcnt(0)
	v_cndmask_b32_e32 v10, v5, v2, vcc
	v_cndmask_b32_e32 v5, v1, v5, vcc
	v_and_b32_e32 v9, s19, v10
	v_and_b32_e32 v11, s19, v5
	v_cmp_le_i32_e64 s[4:5], v11, v9
	s_and_b64 s[2:3], s[2:3], s[4:5]
	s_or_b64 s[0:1], s[0:1], s[2:3]
	v_cndmask_b32_e64 v13, v8, v7, s[0:1]
	v_cndmask_b32_e64 v9, v3, v4, s[0:1]
	v_add_u32_e32 v11, 1, v13
	v_add_u32_e32 v9, -1, v9
	v_min_u32_e32 v9, v11, v9
	v_lshlrev_b32_e32 v9, 2, v9
	ds_read_b32 v9, v9
	v_cndmask_b32_e64 v8, v11, v8, s[0:1]
	v_cndmask_b32_e64 v7, v7, v11, s[0:1]
	v_cmp_gt_u32_e64 s[4:5], s33, v7
	v_cmp_le_u32_e64 s[2:3], s17, v8
	s_waitcnt lgkmcnt(0)
	v_cndmask_b32_e64 v15, v9, v10, s[0:1]
	v_cndmask_b32_e64 v9, v5, v9, s[0:1]
	v_and_b32_e32 v11, s19, v15
	v_and_b32_e32 v12, s19, v9
	v_cmp_le_i32_e64 s[6:7], v12, v11
	s_and_b64 s[4:5], s[4:5], s[6:7]
	s_or_b64 s[2:3], s[2:3], s[4:5]
	v_cndmask_b32_e64 v12, v8, v7, s[2:3]
	v_cndmask_b32_e64 v3, v3, v4, s[2:3]
	v_add_u32_e32 v11, 1, v12
	v_add_u32_e32 v3, -1, v3
	v_min_u32_e32 v3, v11, v3
	v_lshlrev_b32_e32 v3, 2, v3
	ds_read_b32 v16, v3
	v_cndmask_b32_e64 v3, v10, v5, s[0:1]
	v_cndmask_b32_e64 v4, v15, v9, s[2:3]
	v_cndmask_b32_e32 v2, v2, v1, vcc
	v_cndmask_b32_e64 v1, v11, v8, s[2:3]
	s_waitcnt lgkmcnt(0)
	v_cndmask_b32_e64 v5, v16, v15, s[2:3]
	v_cndmask_b32_e64 v9, v9, v16, s[2:3]
	;; [unrolled: 1-line block ×3, first 2 shown]
	v_and_b32_e32 v8, s19, v5
	v_and_b32_e32 v10, s19, v9
	v_cmp_gt_u32_e64 s[0:1], s33, v7
	v_cmp_le_i32_e64 s[2:3], v10, v8
	v_cmp_le_u32_e32 vcc, s17, v1
	s_and_b64 s[0:1], s[0:1], s[2:3]
	s_or_b64 vcc, vcc, s[0:1]
	v_cndmask_b32_e32 v1, v1, v7, vcc
	v_cndmask_b32_e32 v5, v5, v9, vcc
.LBB21_23:
	s_or_b64 exec, exec, s[8:9]
	s_add_u32 s8, s12, s26
	s_addc_u32 s9, s13, s27
	s_add_u32 s6, s12, s28
	v_cndmask_b32_e64 v7, 0, 1, s[20:21]
	v_mov_b32_e32 v9, 0
	s_addc_u32 s7, s13, s29
	v_cmp_gt_u32_e64 s[4:5], s33, v0
	v_cmp_ne_u32_e64 s[0:1], 1, v7
	s_andn2_b64 vcc, exec, s[20:21]
	v_cmp_le_u32_e64 s[2:3], s33, v0
	s_barrier
	s_cbranch_vccnz .LBB21_25
; %bb.24:
	v_subrev_u32_e32 v7, s33, v0
	v_lshlrev_b32_e32 v8, 2, v7
	v_mov_b32_e32 v7, v9
	v_lshl_add_u64 v[16:17], s[8:9], 0, v[6:7]
	v_or_b32_e32 v7, 0x100, v0
	v_lshl_add_u64 v[10:11], s[6:7], 0, v[8:9]
	v_subrev_u32_e32 v8, s33, v7
	v_cndmask_b32_e64 v11, v11, v17, s[4:5]
	v_cndmask_b32_e64 v10, v10, v16, s[4:5]
	v_min_u32_e32 v8, v7, v8
	v_mov_b32_e32 v16, s7
	v_mov_b32_e32 v17, s9
	v_cmp_gt_u32_e32 vcc, s33, v7
	v_mov_b32_e32 v18, s6
	v_mov_b32_e32 v19, s8
	global_load_dword v15, v[10:11], off
	v_cndmask_b32_e32 v11, v16, v17, vcc
	v_cndmask_b32_e32 v10, v18, v19, vcc
	v_lshlrev_b32_e32 v8, 2, v8
	v_or_b32_e32 v7, 0x200, v0
	v_lshl_add_u64 v[10:11], v[10:11], 0, v[8:9]
	v_subrev_u32_e32 v8, s33, v7
	v_min_u32_e32 v8, v7, v8
	v_cmp_gt_u32_e32 vcc, s33, v7
	global_load_dword v20, v[10:11], off
	v_lshlrev_b32_e32 v8, 2, v8
	v_cndmask_b32_e32 v11, v16, v17, vcc
	v_cndmask_b32_e32 v10, v18, v19, vcc
	v_lshl_add_u64 v[8:9], v[10:11], 0, v[8:9]
	global_load_dword v11, v[8:9], off
	v_or_b32_e32 v7, 0x300, v0
	v_subrev_u32_e32 v8, s33, v7
	v_cmp_gt_u32_e32 vcc, s33, v7
	v_min_u32_e32 v10, v7, v8
	s_nop 0
	v_cndmask_b32_e32 v9, v16, v17, vcc
	v_cndmask_b32_e32 v8, v18, v19, vcc
	s_mov_b64 s[4:5], -1
	s_waitcnt vmcnt(1)
	ds_write2st64_b32 v6, v15, v20 offset1:4
	s_waitcnt vmcnt(0)
	ds_write_b32 v6, v11 offset:2048
	s_cbranch_execz .LBB21_26
	s_branch .LBB21_41
.LBB21_25:
	s_mov_b64 s[4:5], 0
                                        ; implicit-def: $vgpr7
                                        ; implicit-def: $vgpr8_vgpr9
                                        ; implicit-def: $vgpr10
.LBB21_26:
	s_mov_b64 s[4:5], 0
                                        ; implicit-def: $vgpr8_vgpr9
	s_and_saveexec_b64 s[26:27], s[2:3]
	s_xor_b64 s[2:3], exec, s[26:27]
	s_cbranch_execnz .LBB21_68
; %bb.27:
	s_andn2_saveexec_b64 s[2:3], s[2:3]
	s_cbranch_execnz .LBB21_71
.LBB21_28:
	s_or_b64 exec, exec, s[2:3]
	s_and_saveexec_b64 s[2:3], s[4:5]
	s_cbranch_execz .LBB21_30
.LBB21_29:
	global_load_dword v7, v[8:9], off
	s_waitcnt vmcnt(0)
	ds_write_b32 v6, v7
.LBB21_30:
	s_or_b64 exec, exec, s[2:3]
	v_or_b32_e32 v7, 0x100, v0
	v_cmp_le_u32_e32 vcc, s33, v7
	s_mov_b64 s[2:3], -1
	v_mov_b64_e32 v[8:9], s[22:23]
	s_and_saveexec_b64 s[4:5], vcc
; %bb.31:
	v_subrev_u32_e32 v7, s33, v7
	v_cmp_gt_u32_e32 vcc, s35, v7
	v_mov_b64_e32 v[8:9], s[24:25]
	s_orn2_b64 s[2:3], vcc, exec
; %bb.32:
	s_or_b64 exec, exec, s[4:5]
	s_and_saveexec_b64 s[4:5], s[2:3]
	s_cbranch_execz .LBB21_34
; %bb.33:
	v_lshl_add_u64 v[8:9], v[8:9], 2, s[12:13]
	v_lshlrev_b32_e32 v10, 2, v7
	v_mov_b32_e32 v11, 0
	v_lshl_add_u64 v[8:9], v[8:9], 0, v[10:11]
	global_load_dword v7, v[8:9], off
	s_waitcnt vmcnt(0)
	ds_write_b32 v6, v7 offset:1024
.LBB21_34:
	s_or_b64 exec, exec, s[4:5]
	v_or_b32_e32 v7, 0x200, v0
	v_cmp_le_u32_e32 vcc, s33, v7
	s_mov_b64 s[2:3], -1
	v_mov_b64_e32 v[8:9], s[22:23]
	s_and_saveexec_b64 s[4:5], vcc
; %bb.35:
	v_subrev_u32_e32 v7, s33, v7
	v_cmp_gt_u32_e32 vcc, s35, v7
	v_mov_b64_e32 v[8:9], s[24:25]
	s_orn2_b64 s[2:3], vcc, exec
; %bb.36:
	s_or_b64 exec, exec, s[4:5]
	s_and_saveexec_b64 s[4:5], s[2:3]
	s_cbranch_execz .LBB21_38
; %bb.37:
	v_lshl_add_u64 v[8:9], v[8:9], 2, s[12:13]
	v_lshlrev_b32_e32 v10, 2, v7
	v_mov_b32_e32 v11, 0
	v_lshl_add_u64 v[8:9], v[8:9], 0, v[10:11]
	global_load_dword v7, v[8:9], off
	s_waitcnt vmcnt(0)
	ds_write_b32 v6, v7 offset:2048
.LBB21_38:
	s_or_b64 exec, exec, s[4:5]
	v_or_b32_e32 v7, 0x300, v0
	v_cmp_le_u32_e32 vcc, s33, v7
	s_mov_b64 s[4:5], -1
	v_mov_b64_e32 v[8:9], s[8:9]
	v_mov_b32_e32 v10, v7
	s_and_saveexec_b64 s[2:3], vcc
; %bb.39:
	v_subrev_u32_e32 v10, s33, v7
	v_cmp_gt_u32_e32 vcc, s35, v10
	v_mov_b64_e32 v[8:9], s[6:7]
	s_orn2_b64 s[4:5], vcc, exec
; %bb.40:
	s_or_b64 exec, exec, s[2:3]
.LBB21_41:
	s_and_saveexec_b64 s[2:3], s[4:5]
	s_cbranch_execz .LBB21_43
; %bb.42:
	v_mov_b32_e32 v11, 0
	v_lshl_add_u64 v[8:9], v[10:11], 2, v[8:9]
	global_load_dword v8, v[8:9], off
	v_lshlrev_b32_e32 v7, 2, v7
	s_waitcnt vmcnt(0)
	ds_write_b32 v7, v8
.LBB21_43:
	s_or_b64 exec, exec, s[2:3]
	s_and_b64 vcc, exec, s[0:1]
	v_add_u32_e32 v8, s18, v6
	s_waitcnt lgkmcnt(0)
	s_barrier
	s_cbranch_vccnz .LBB21_45
; %bb.44:
	v_lshlrev_b32_e32 v7, 2, v14
	v_lshlrev_b32_e32 v9, 2, v13
	;; [unrolled: 1-line block ×3, first 2 shown]
	ds_read_b32 v16, v7
	ds_read_b32 v17, v9
	;; [unrolled: 1-line block ×3, first 2 shown]
	v_mov_b32_e32 v9, 0
	v_lshl_add_u64 v[10:11], v[8:9], 2, s[14:15]
	s_mov_b64 s[0:1], -1
	s_waitcnt lgkmcnt(0)
	global_store_dwordx3 v[10:11], v[16:18], off
	s_cbranch_execz .LBB21_46
	s_branch .LBB21_55
.LBB21_45:
	s_mov_b64 s[0:1], 0
.LBB21_46:
	v_cmp_gt_u32_e32 vcc, s17, v6
	s_and_saveexec_b64 s[2:3], vcc
	s_cbranch_execz .LBB21_48
; %bb.47:
	v_lshlrev_b32_e32 v7, 2, v14
	ds_read_b32 v7, v7
	v_mov_b32_e32 v9, 0
	v_lshl_add_u64 v[10:11], v[8:9], 2, s[14:15]
	s_waitcnt lgkmcnt(0)
	global_store_dword v[10:11], v7, off
.LBB21_48:
	s_or_b64 exec, exec, s[2:3]
	v_or_b32_e32 v7, 1, v6
	v_cmp_gt_u32_e32 vcc, s17, v7
	s_and_saveexec_b64 s[2:3], vcc
	s_cbranch_execz .LBB21_50
; %bb.49:
	v_lshlrev_b32_e32 v7, 2, v13
	ds_read_b32 v7, v7
	v_mov_b32_e32 v9, 0
	v_lshl_add_u64 v[10:11], v[8:9], 2, s[14:15]
	s_waitcnt lgkmcnt(0)
	global_store_dword v[10:11], v7, off offset:4
.LBB21_50:
	s_or_b64 exec, exec, s[2:3]
	v_or_b32_e32 v7, 2, v6
	v_cmp_gt_u32_e32 vcc, s17, v7
	s_and_saveexec_b64 s[2:3], vcc
	s_cbranch_execz .LBB21_52
; %bb.51:
	v_lshlrev_b32_e32 v7, 2, v12
	ds_read_b32 v7, v7
	v_mov_b32_e32 v9, 0
	v_lshl_add_u64 v[10:11], v[8:9], 2, s[14:15]
	s_waitcnt lgkmcnt(0)
	global_store_dword v[10:11], v7, off offset:8
.LBB21_52:
	s_or_b64 exec, exec, s[2:3]
	v_or_b32_e32 v7, 3, v6
	v_cmp_gt_u32_e32 vcc, s17, v7
	s_and_saveexec_b64 s[2:3], vcc
; %bb.53:
	v_mov_b32_e32 v9, 0
	s_or_b64 s[0:1], s[0:1], exec
; %bb.54:
	s_or_b64 exec, exec, s[2:3]
.LBB21_55:
	s_and_saveexec_b64 s[2:3], s[0:1]
	s_cbranch_execz .LBB21_57
; %bb.56:
	v_lshlrev_b32_e32 v1, 2, v1
	ds_read_b32 v1, v1
	v_lshl_add_u64 v[8:9], v[8:9], 2, s[14:15]
	s_waitcnt lgkmcnt(0)
	global_store_dword v[8:9], v1, off offset:12
.LBB21_57:
	s_or_b64 exec, exec, s[2:3]
	v_lshrrev_b32_e32 v1, 3, v0
	v_lshlrev_b32_e32 v7, 2, v6
	v_lshl_add_u32 v7, v1, 2, v7
	s_barrier
	s_barrier
	ds_write2_b32 v7, v2, v3 offset1:1
	ds_write2_b32 v7, v4, v5 offset0:2 offset1:3
	v_and_b32_e32 v1, 28, v1
	v_or_b32_e32 v5, 0x100, v0
	v_add_u32_e32 v8, v1, v6
	v_lshrrev_b32_e32 v1, 3, v5
	v_and_b32_e32 v1, 60, v1
	v_or_b32_e32 v4, 0x200, v0
	v_add_u32_e32 v9, v1, v6
	v_lshrrev_b32_e32 v1, 3, v4
	s_mov_b32 s19, 0
	v_and_b32_e32 v1, 0x5c, v1
	s_lshl_b64 s[0:1], s[18:19], 2
	v_add_u32_e32 v10, v1, v6
	v_or_b32_e32 v1, 0x300, v0
	s_add_u32 s0, s10, s0
	v_lshrrev_b32_e32 v2, 3, v1
	s_addc_u32 s1, s11, s1
	v_and_b32_e32 v2, 0x7c, v2
	v_mov_b32_e32 v7, 0
	v_add_u32_e32 v11, v2, v6
	v_lshl_add_u64 v[2:3], s[0:1], 0, v[6:7]
	s_and_b64 vcc, exec, s[20:21]
	s_waitcnt lgkmcnt(0)
	s_cbranch_vccz .LBB21_59
; %bb.58:
	s_barrier
	ds_read_b32 v6, v8
	ds_read_b32 v7, v9 offset:1024
	ds_read_b32 v13, v10 offset:2048
	;; [unrolled: 1-line block ×3, first 2 shown]
	s_waitcnt lgkmcnt(3)
	global_store_dword v[2:3], v6, off
	s_waitcnt lgkmcnt(2)
	global_store_dword v[2:3], v7, off offset:1024
	s_waitcnt lgkmcnt(1)
	global_store_dword v[2:3], v13, off offset:2048
	s_mov_b64 s[0:1], -1
	s_cbranch_execz .LBB21_60
	s_branch .LBB21_65
.LBB21_59:
	s_mov_b64 s[0:1], 0
                                        ; implicit-def: $vgpr12
.LBB21_60:
	s_barrier
	s_waitcnt lgkmcnt(0)
	ds_read_b32 v7, v9 offset:1024
	ds_read_b32 v6, v10 offset:2048
	;; [unrolled: 1-line block ×3, first 2 shown]
	s_sub_i32 s2, s16, s18
	v_cmp_gt_u32_e32 vcc, s2, v0
	s_and_saveexec_b64 s[0:1], vcc
	s_cbranch_execnz .LBB21_72
; %bb.61:
	s_or_b64 exec, exec, s[0:1]
	v_cmp_gt_u32_e32 vcc, s2, v5
	s_and_saveexec_b64 s[0:1], vcc
	s_cbranch_execnz .LBB21_73
.LBB21_62:
	s_or_b64 exec, exec, s[0:1]
	v_cmp_gt_u32_e32 vcc, s2, v4
	s_and_saveexec_b64 s[0:1], vcc
	s_cbranch_execz .LBB21_64
.LBB21_63:
	s_waitcnt lgkmcnt(1)
	global_store_dword v[2:3], v6, off offset:2048
.LBB21_64:
	s_or_b64 exec, exec, s[0:1]
	v_cmp_gt_u32_e64 s[0:1], s2, v1
.LBB21_65:
	s_and_saveexec_b64 s[2:3], s[0:1]
	s_cbranch_execz .LBB21_67
; %bb.66:
	s_waitcnt lgkmcnt(0)
	global_store_dword v[2:3], v12, off offset:3072
.LBB21_67:
	s_endpgm
.LBB21_68:
	v_subrev_u32_e32 v7, s33, v0
	v_cmp_gt_u32_e32 vcc, s35, v7
                                        ; implicit-def: $vgpr8_vgpr9
	s_and_saveexec_b64 s[26:27], vcc
	s_xor_b64 s[26:27], exec, s[26:27]
; %bb.69:
	v_lshlrev_b32_e32 v8, 2, v7
	v_mov_b32_e32 v9, 0
	s_mov_b64 s[4:5], exec
	v_lshl_add_u64 v[8:9], s[6:7], 0, v[8:9]
; %bb.70:
	s_or_b64 exec, exec, s[26:27]
	s_and_b64 s[4:5], s[4:5], exec
	s_andn2_saveexec_b64 s[2:3], s[2:3]
	s_cbranch_execz .LBB21_28
.LBB21_71:
	v_mov_b32_e32 v7, 0
	v_lshl_add_u64 v[8:9], s[8:9], 0, v[6:7]
	s_or_b64 s[4:5], s[4:5], exec
	s_or_b64 exec, exec, s[2:3]
	s_and_saveexec_b64 s[2:3], s[4:5]
	s_cbranch_execnz .LBB21_29
	s_branch .LBB21_30
.LBB21_72:
	ds_read_b32 v0, v8
	s_waitcnt lgkmcnt(0)
	global_store_dword v[2:3], v0, off
	s_or_b64 exec, exec, s[0:1]
	v_cmp_gt_u32_e32 vcc, s2, v5
	s_and_saveexec_b64 s[0:1], vcc
	s_cbranch_execz .LBB21_62
.LBB21_73:
	s_waitcnt lgkmcnt(2)
	global_store_dword v[2:3], v7, off offset:1024
	s_or_b64 exec, exec, s[0:1]
	v_cmp_gt_u32_e32 vcc, s2, v4
	s_and_saveexec_b64 s[0:1], vcc
	s_cbranch_execnz .LBB21_63
	s_branch .LBB21_64
	.section	.rodata,"a",@progbits
	.p2align	6, 0x0
	.amdhsa_kernel _ZN7rocprim17ROCPRIM_304000_NS6detail35device_block_merge_mergepath_kernelINS1_37wrapped_merge_sort_block_merge_configINS0_14default_configEiN2at4cuda3cub6detail10OpaqueTypeILi4EEEEEPiSC_PSA_SD_jNS1_19radix_merge_compareILb0ELb1EiNS0_19identity_decomposerEEEEEvT0_T1_T2_T3_T4_SL_jT5_PKSL_NS1_7vsmem_tE
		.amdhsa_group_segment_fixed_size 4224
		.amdhsa_private_segment_fixed_size 0
		.amdhsa_kernarg_size 320
		.amdhsa_user_sgpr_count 2
		.amdhsa_user_sgpr_dispatch_ptr 0
		.amdhsa_user_sgpr_queue_ptr 0
		.amdhsa_user_sgpr_kernarg_segment_ptr 1
		.amdhsa_user_sgpr_dispatch_id 0
		.amdhsa_user_sgpr_kernarg_preload_length 0
		.amdhsa_user_sgpr_kernarg_preload_offset 0
		.amdhsa_user_sgpr_private_segment_size 0
		.amdhsa_uses_dynamic_stack 0
		.amdhsa_enable_private_segment 0
		.amdhsa_system_sgpr_workgroup_id_x 1
		.amdhsa_system_sgpr_workgroup_id_y 1
		.amdhsa_system_sgpr_workgroup_id_z 1
		.amdhsa_system_sgpr_workgroup_info 0
		.amdhsa_system_vgpr_workitem_id 0
		.amdhsa_next_free_vgpr 21
		.amdhsa_next_free_sgpr 37
		.amdhsa_accum_offset 24
		.amdhsa_reserve_vcc 1
		.amdhsa_float_round_mode_32 0
		.amdhsa_float_round_mode_16_64 0
		.amdhsa_float_denorm_mode_32 3
		.amdhsa_float_denorm_mode_16_64 3
		.amdhsa_dx10_clamp 1
		.amdhsa_ieee_mode 1
		.amdhsa_fp16_overflow 0
		.amdhsa_tg_split 0
		.amdhsa_exception_fp_ieee_invalid_op 0
		.amdhsa_exception_fp_denorm_src 0
		.amdhsa_exception_fp_ieee_div_zero 0
		.amdhsa_exception_fp_ieee_overflow 0
		.amdhsa_exception_fp_ieee_underflow 0
		.amdhsa_exception_fp_ieee_inexact 0
		.amdhsa_exception_int_div_zero 0
	.end_amdhsa_kernel
	.section	.text._ZN7rocprim17ROCPRIM_304000_NS6detail35device_block_merge_mergepath_kernelINS1_37wrapped_merge_sort_block_merge_configINS0_14default_configEiN2at4cuda3cub6detail10OpaqueTypeILi4EEEEEPiSC_PSA_SD_jNS1_19radix_merge_compareILb0ELb1EiNS0_19identity_decomposerEEEEEvT0_T1_T2_T3_T4_SL_jT5_PKSL_NS1_7vsmem_tE,"axG",@progbits,_ZN7rocprim17ROCPRIM_304000_NS6detail35device_block_merge_mergepath_kernelINS1_37wrapped_merge_sort_block_merge_configINS0_14default_configEiN2at4cuda3cub6detail10OpaqueTypeILi4EEEEEPiSC_PSA_SD_jNS1_19radix_merge_compareILb0ELb1EiNS0_19identity_decomposerEEEEEvT0_T1_T2_T3_T4_SL_jT5_PKSL_NS1_7vsmem_tE,comdat
.Lfunc_end21:
	.size	_ZN7rocprim17ROCPRIM_304000_NS6detail35device_block_merge_mergepath_kernelINS1_37wrapped_merge_sort_block_merge_configINS0_14default_configEiN2at4cuda3cub6detail10OpaqueTypeILi4EEEEEPiSC_PSA_SD_jNS1_19radix_merge_compareILb0ELb1EiNS0_19identity_decomposerEEEEEvT0_T1_T2_T3_T4_SL_jT5_PKSL_NS1_7vsmem_tE, .Lfunc_end21-_ZN7rocprim17ROCPRIM_304000_NS6detail35device_block_merge_mergepath_kernelINS1_37wrapped_merge_sort_block_merge_configINS0_14default_configEiN2at4cuda3cub6detail10OpaqueTypeILi4EEEEEPiSC_PSA_SD_jNS1_19radix_merge_compareILb0ELb1EiNS0_19identity_decomposerEEEEEvT0_T1_T2_T3_T4_SL_jT5_PKSL_NS1_7vsmem_tE
                                        ; -- End function
	.set _ZN7rocprim17ROCPRIM_304000_NS6detail35device_block_merge_mergepath_kernelINS1_37wrapped_merge_sort_block_merge_configINS0_14default_configEiN2at4cuda3cub6detail10OpaqueTypeILi4EEEEEPiSC_PSA_SD_jNS1_19radix_merge_compareILb0ELb1EiNS0_19identity_decomposerEEEEEvT0_T1_T2_T3_T4_SL_jT5_PKSL_NS1_7vsmem_tE.num_vgpr, 21
	.set _ZN7rocprim17ROCPRIM_304000_NS6detail35device_block_merge_mergepath_kernelINS1_37wrapped_merge_sort_block_merge_configINS0_14default_configEiN2at4cuda3cub6detail10OpaqueTypeILi4EEEEEPiSC_PSA_SD_jNS1_19radix_merge_compareILb0ELb1EiNS0_19identity_decomposerEEEEEvT0_T1_T2_T3_T4_SL_jT5_PKSL_NS1_7vsmem_tE.num_agpr, 0
	.set _ZN7rocprim17ROCPRIM_304000_NS6detail35device_block_merge_mergepath_kernelINS1_37wrapped_merge_sort_block_merge_configINS0_14default_configEiN2at4cuda3cub6detail10OpaqueTypeILi4EEEEEPiSC_PSA_SD_jNS1_19radix_merge_compareILb0ELb1EiNS0_19identity_decomposerEEEEEvT0_T1_T2_T3_T4_SL_jT5_PKSL_NS1_7vsmem_tE.numbered_sgpr, 37
	.set _ZN7rocprim17ROCPRIM_304000_NS6detail35device_block_merge_mergepath_kernelINS1_37wrapped_merge_sort_block_merge_configINS0_14default_configEiN2at4cuda3cub6detail10OpaqueTypeILi4EEEEEPiSC_PSA_SD_jNS1_19radix_merge_compareILb0ELb1EiNS0_19identity_decomposerEEEEEvT0_T1_T2_T3_T4_SL_jT5_PKSL_NS1_7vsmem_tE.num_named_barrier, 0
	.set _ZN7rocprim17ROCPRIM_304000_NS6detail35device_block_merge_mergepath_kernelINS1_37wrapped_merge_sort_block_merge_configINS0_14default_configEiN2at4cuda3cub6detail10OpaqueTypeILi4EEEEEPiSC_PSA_SD_jNS1_19radix_merge_compareILb0ELb1EiNS0_19identity_decomposerEEEEEvT0_T1_T2_T3_T4_SL_jT5_PKSL_NS1_7vsmem_tE.private_seg_size, 0
	.set _ZN7rocprim17ROCPRIM_304000_NS6detail35device_block_merge_mergepath_kernelINS1_37wrapped_merge_sort_block_merge_configINS0_14default_configEiN2at4cuda3cub6detail10OpaqueTypeILi4EEEEEPiSC_PSA_SD_jNS1_19radix_merge_compareILb0ELb1EiNS0_19identity_decomposerEEEEEvT0_T1_T2_T3_T4_SL_jT5_PKSL_NS1_7vsmem_tE.uses_vcc, 1
	.set _ZN7rocprim17ROCPRIM_304000_NS6detail35device_block_merge_mergepath_kernelINS1_37wrapped_merge_sort_block_merge_configINS0_14default_configEiN2at4cuda3cub6detail10OpaqueTypeILi4EEEEEPiSC_PSA_SD_jNS1_19radix_merge_compareILb0ELb1EiNS0_19identity_decomposerEEEEEvT0_T1_T2_T3_T4_SL_jT5_PKSL_NS1_7vsmem_tE.uses_flat_scratch, 0
	.set _ZN7rocprim17ROCPRIM_304000_NS6detail35device_block_merge_mergepath_kernelINS1_37wrapped_merge_sort_block_merge_configINS0_14default_configEiN2at4cuda3cub6detail10OpaqueTypeILi4EEEEEPiSC_PSA_SD_jNS1_19radix_merge_compareILb0ELb1EiNS0_19identity_decomposerEEEEEvT0_T1_T2_T3_T4_SL_jT5_PKSL_NS1_7vsmem_tE.has_dyn_sized_stack, 0
	.set _ZN7rocprim17ROCPRIM_304000_NS6detail35device_block_merge_mergepath_kernelINS1_37wrapped_merge_sort_block_merge_configINS0_14default_configEiN2at4cuda3cub6detail10OpaqueTypeILi4EEEEEPiSC_PSA_SD_jNS1_19radix_merge_compareILb0ELb1EiNS0_19identity_decomposerEEEEEvT0_T1_T2_T3_T4_SL_jT5_PKSL_NS1_7vsmem_tE.has_recursion, 0
	.set _ZN7rocprim17ROCPRIM_304000_NS6detail35device_block_merge_mergepath_kernelINS1_37wrapped_merge_sort_block_merge_configINS0_14default_configEiN2at4cuda3cub6detail10OpaqueTypeILi4EEEEEPiSC_PSA_SD_jNS1_19radix_merge_compareILb0ELb1EiNS0_19identity_decomposerEEEEEvT0_T1_T2_T3_T4_SL_jT5_PKSL_NS1_7vsmem_tE.has_indirect_call, 0
	.section	.AMDGPU.csdata,"",@progbits
; Kernel info:
; codeLenInByte = 3020
; TotalNumSgprs: 43
; NumVgprs: 21
; NumAgprs: 0
; TotalNumVgprs: 21
; ScratchSize: 0
; MemoryBound: 0
; FloatMode: 240
; IeeeMode: 1
; LDSByteSize: 4224 bytes/workgroup (compile time only)
; SGPRBlocks: 5
; VGPRBlocks: 2
; NumSGPRsForWavesPerEU: 43
; NumVGPRsForWavesPerEU: 21
; AccumOffset: 24
; Occupancy: 8
; WaveLimiterHint : 1
; COMPUTE_PGM_RSRC2:SCRATCH_EN: 0
; COMPUTE_PGM_RSRC2:USER_SGPR: 2
; COMPUTE_PGM_RSRC2:TRAP_HANDLER: 0
; COMPUTE_PGM_RSRC2:TGID_X_EN: 1
; COMPUTE_PGM_RSRC2:TGID_Y_EN: 1
; COMPUTE_PGM_RSRC2:TGID_Z_EN: 1
; COMPUTE_PGM_RSRC2:TIDIG_COMP_CNT: 0
; COMPUTE_PGM_RSRC3_GFX90A:ACCUM_OFFSET: 5
; COMPUTE_PGM_RSRC3_GFX90A:TG_SPLIT: 0
	.section	.text._ZN7rocprim17ROCPRIM_304000_NS6detail33device_block_merge_oddeven_kernelINS1_37wrapped_merge_sort_block_merge_configINS0_14default_configEiN2at4cuda3cub6detail10OpaqueTypeILi4EEEEEPiSC_PSA_SD_jNS1_19radix_merge_compareILb0ELb1EiNS0_19identity_decomposerEEEEEvT0_T1_T2_T3_T4_SL_T5_,"axG",@progbits,_ZN7rocprim17ROCPRIM_304000_NS6detail33device_block_merge_oddeven_kernelINS1_37wrapped_merge_sort_block_merge_configINS0_14default_configEiN2at4cuda3cub6detail10OpaqueTypeILi4EEEEEPiSC_PSA_SD_jNS1_19radix_merge_compareILb0ELb1EiNS0_19identity_decomposerEEEEEvT0_T1_T2_T3_T4_SL_T5_,comdat
	.protected	_ZN7rocprim17ROCPRIM_304000_NS6detail33device_block_merge_oddeven_kernelINS1_37wrapped_merge_sort_block_merge_configINS0_14default_configEiN2at4cuda3cub6detail10OpaqueTypeILi4EEEEEPiSC_PSA_SD_jNS1_19radix_merge_compareILb0ELb1EiNS0_19identity_decomposerEEEEEvT0_T1_T2_T3_T4_SL_T5_ ; -- Begin function _ZN7rocprim17ROCPRIM_304000_NS6detail33device_block_merge_oddeven_kernelINS1_37wrapped_merge_sort_block_merge_configINS0_14default_configEiN2at4cuda3cub6detail10OpaqueTypeILi4EEEEEPiSC_PSA_SD_jNS1_19radix_merge_compareILb0ELb1EiNS0_19identity_decomposerEEEEEvT0_T1_T2_T3_T4_SL_T5_
	.globl	_ZN7rocprim17ROCPRIM_304000_NS6detail33device_block_merge_oddeven_kernelINS1_37wrapped_merge_sort_block_merge_configINS0_14default_configEiN2at4cuda3cub6detail10OpaqueTypeILi4EEEEEPiSC_PSA_SD_jNS1_19radix_merge_compareILb0ELb1EiNS0_19identity_decomposerEEEEEvT0_T1_T2_T3_T4_SL_T5_
	.p2align	8
	.type	_ZN7rocprim17ROCPRIM_304000_NS6detail33device_block_merge_oddeven_kernelINS1_37wrapped_merge_sort_block_merge_configINS0_14default_configEiN2at4cuda3cub6detail10OpaqueTypeILi4EEEEEPiSC_PSA_SD_jNS1_19radix_merge_compareILb0ELb1EiNS0_19identity_decomposerEEEEEvT0_T1_T2_T3_T4_SL_T5_,@function
_ZN7rocprim17ROCPRIM_304000_NS6detail33device_block_merge_oddeven_kernelINS1_37wrapped_merge_sort_block_merge_configINS0_14default_configEiN2at4cuda3cub6detail10OpaqueTypeILi4EEEEEPiSC_PSA_SD_jNS1_19radix_merge_compareILb0ELb1EiNS0_19identity_decomposerEEEEEvT0_T1_T2_T3_T4_SL_T5_: ; @_ZN7rocprim17ROCPRIM_304000_NS6detail33device_block_merge_oddeven_kernelINS1_37wrapped_merge_sort_block_merge_configINS0_14default_configEiN2at4cuda3cub6detail10OpaqueTypeILi4EEEEEPiSC_PSA_SD_jNS1_19radix_merge_compareILb0ELb1EiNS0_19identity_decomposerEEEEEvT0_T1_T2_T3_T4_SL_T5_
; %bb.0:
	s_load_dwordx4 s[16:19], s[0:1], 0x20
	s_waitcnt lgkmcnt(0)
	s_lshr_b32 s3, s16, 8
	s_cmp_eq_u32 s2, s3
	s_cselect_b64 s[6:7], -1, 0
	s_cmp_lg_u32 s2, s3
	s_cselect_b64 s[8:9], -1, 0
	s_lshl_b32 s20, s2, 8
	s_sub_i32 s3, s16, s20
	v_cmp_gt_u32_e64 s[4:5], s3, v0
	s_or_b64 s[8:9], s[8:9], s[4:5]
	s_and_saveexec_b64 s[10:11], s[8:9]
	s_cbranch_execz .LBB22_24
; %bb.1:
	s_load_dwordx8 s[8:15], s[0:1], 0x0
	s_mov_b32 s21, 0
	s_lshl_b64 s[0:1], s[20:21], 2
	v_lshlrev_b32_e32 v1, 2, v0
	v_add_u32_e32 v0, s20, v0
	s_waitcnt lgkmcnt(0)
	s_add_u32 s22, s8, s0
	s_addc_u32 s23, s9, s1
	s_add_u32 s0, s12, s0
	s_addc_u32 s1, s13, s1
	global_load_dword v2, v1, s[0:1]
	global_load_dword v3, v1, s[22:23]
	s_lshr_b32 s0, s17, 8
	s_sub_i32 s1, 0, s0
	s_and_b32 s1, s2, s1
	s_and_b32 s0, s1, s0
	s_lshl_b32 s19, s1, 8
	s_sub_i32 s12, 0, s17
	s_cmp_eq_u32 s0, 0
	s_cselect_b64 s[0:1], -1, 0
	s_and_b64 s[2:3], s[0:1], exec
	s_cselect_b32 s12, s17, s12
	s_add_i32 s12, s12, s19
	s_mov_b64 s[2:3], -1
	s_cmp_gt_u32 s16, s12
	s_cbranch_scc1 .LBB22_9
; %bb.2:
	s_and_b64 vcc, exec, s[6:7]
	s_cbranch_vccz .LBB22_6
; %bb.3:
	v_cmp_gt_u32_e32 vcc, s16, v0
	s_and_saveexec_b64 s[2:3], vcc
	s_cbranch_execz .LBB22_5
; %bb.4:
	v_mov_b32_e32 v1, 0
	v_lshlrev_b64 v[4:5], 2, v[0:1]
	v_lshl_add_u64 v[6:7], s[14:15], 0, v[4:5]
	v_lshl_add_u64 v[4:5], s[10:11], 0, v[4:5]
	s_waitcnt vmcnt(0)
	global_store_dword v[4:5], v3, off
	global_store_dword v[6:7], v2, off
.LBB22_5:
	s_or_b64 exec, exec, s[2:3]
	s_mov_b64 s[2:3], 0
.LBB22_6:
	s_andn2_b64 vcc, exec, s[2:3]
	s_cbranch_vccnz .LBB22_8
; %bb.7:
	v_mov_b32_e32 v1, 0
	v_lshlrev_b64 v[4:5], 2, v[0:1]
	v_lshl_add_u64 v[6:7], s[10:11], 0, v[4:5]
	v_lshl_add_u64 v[4:5], s[14:15], 0, v[4:5]
	s_waitcnt vmcnt(0)
	global_store_dword v[6:7], v3, off
	global_store_dword v[4:5], v2, off
.LBB22_8:
	s_mov_b64 s[2:3], 0
.LBB22_9:
	s_andn2_b64 vcc, exec, s[2:3]
	s_cbranch_vccnz .LBB22_24
; %bb.10:
	s_min_u32 s13, s12, s16
	s_add_i32 s2, s13, s17
	s_min_u32 s16, s2, s16
	s_min_u32 s2, s19, s13
	s_add_i32 s19, s19, s13
	v_subrev_u32_e32 v0, s19, v0
	v_add_u32_e32 v4, s2, v0
	s_waitcnt vmcnt(0)
	v_and_b32_e32 v5, s18, v3
	s_mov_b64 s[2:3], -1
	s_and_b64 vcc, exec, s[6:7]
	s_cbranch_vccz .LBB22_18
; %bb.11:
	s_and_saveexec_b64 s[2:3], s[4:5]
	s_cbranch_execz .LBB22_17
; %bb.12:
	s_cmp_ge_u32 s12, s16
	v_mov_b32_e32 v6, s13
	s_cbranch_scc1 .LBB22_16
; %bb.13:
	s_mov_b64 s[4:5], 0
	v_mov_b32_e32 v7, s16
	v_mov_b32_e32 v6, s13
	;; [unrolled: 1-line block ×3, first 2 shown]
.LBB22_14:                              ; =>This Inner Loop Header: Depth=1
	v_add_u32_e32 v0, v6, v7
	v_lshrrev_b32_e32 v0, 1, v0
	v_lshl_add_u64 v[8:9], v[0:1], 2, s[8:9]
	global_load_dword v8, v[8:9], off
	v_add_u32_e32 v9, 1, v0
	s_waitcnt vmcnt(0)
	v_and_b32_e32 v8, s18, v8
	v_cmp_gt_i32_e32 vcc, v5, v8
	s_nop 1
	v_cndmask_b32_e64 v10, 0, 1, vcc
	v_cmp_le_i32_e32 vcc, v8, v5
	s_nop 1
	v_cndmask_b32_e64 v8, 0, 1, vcc
	v_cndmask_b32_e64 v8, v8, v10, s[0:1]
	v_and_b32_e32 v8, 1, v8
	v_cmp_eq_u32_e32 vcc, 1, v8
	s_nop 1
	v_cndmask_b32_e32 v7, v0, v7, vcc
	v_cndmask_b32_e32 v6, v6, v9, vcc
	v_cmp_ge_u32_e32 vcc, v6, v7
	s_or_b64 s[4:5], vcc, s[4:5]
	s_andn2_b64 exec, exec, s[4:5]
	s_cbranch_execnz .LBB22_14
; %bb.15:
	s_or_b64 exec, exec, s[4:5]
.LBB22_16:
	v_add_u32_e32 v0, v6, v4
	v_mov_b32_e32 v1, 0
	v_lshlrev_b64 v[0:1], 2, v[0:1]
	v_lshl_add_u64 v[6:7], s[10:11], 0, v[0:1]
	v_lshl_add_u64 v[0:1], s[14:15], 0, v[0:1]
	global_store_dword v[6:7], v3, off
	global_store_dword v[0:1], v2, off
.LBB22_17:
	s_or_b64 exec, exec, s[2:3]
	s_mov_b64 s[2:3], 0
.LBB22_18:
	s_andn2_b64 vcc, exec, s[2:3]
	s_cbranch_vccnz .LBB22_24
; %bb.19:
	s_cmp_ge_u32 s12, s16
	v_mov_b32_e32 v6, s13
	s_cbranch_scc1 .LBB22_23
; %bb.20:
	s_mov_b64 s[2:3], 0
	v_mov_b32_e32 v7, s16
	v_mov_b32_e32 v6, s13
	;; [unrolled: 1-line block ×3, first 2 shown]
.LBB22_21:                              ; =>This Inner Loop Header: Depth=1
	v_add_u32_e32 v0, v6, v7
	v_lshrrev_b32_e32 v0, 1, v0
	v_lshl_add_u64 v[8:9], v[0:1], 2, s[8:9]
	global_load_dword v8, v[8:9], off
	v_add_u32_e32 v9, 1, v0
	s_waitcnt vmcnt(0)
	v_and_b32_e32 v8, s18, v8
	v_cmp_gt_i32_e32 vcc, v5, v8
	s_nop 1
	v_cndmask_b32_e64 v10, 0, 1, vcc
	v_cmp_le_i32_e32 vcc, v8, v5
	s_nop 1
	v_cndmask_b32_e64 v8, 0, 1, vcc
	v_cndmask_b32_e64 v8, v8, v10, s[0:1]
	v_and_b32_e32 v8, 1, v8
	v_cmp_eq_u32_e32 vcc, 1, v8
	s_nop 1
	v_cndmask_b32_e32 v7, v0, v7, vcc
	v_cndmask_b32_e32 v6, v6, v9, vcc
	v_cmp_ge_u32_e32 vcc, v6, v7
	s_or_b64 s[2:3], vcc, s[2:3]
	s_andn2_b64 exec, exec, s[2:3]
	s_cbranch_execnz .LBB22_21
; %bb.22:
	s_or_b64 exec, exec, s[2:3]
.LBB22_23:
	v_add_u32_e32 v0, v6, v4
	v_mov_b32_e32 v1, 0
	v_lshlrev_b64 v[0:1], 2, v[0:1]
	v_lshl_add_u64 v[4:5], s[10:11], 0, v[0:1]
	v_lshl_add_u64 v[0:1], s[14:15], 0, v[0:1]
	global_store_dword v[4:5], v3, off
	global_store_dword v[0:1], v2, off
.LBB22_24:
	s_endpgm
	.section	.rodata,"a",@progbits
	.p2align	6, 0x0
	.amdhsa_kernel _ZN7rocprim17ROCPRIM_304000_NS6detail33device_block_merge_oddeven_kernelINS1_37wrapped_merge_sort_block_merge_configINS0_14default_configEiN2at4cuda3cub6detail10OpaqueTypeILi4EEEEEPiSC_PSA_SD_jNS1_19radix_merge_compareILb0ELb1EiNS0_19identity_decomposerEEEEEvT0_T1_T2_T3_T4_SL_T5_
		.amdhsa_group_segment_fixed_size 0
		.amdhsa_private_segment_fixed_size 0
		.amdhsa_kernarg_size 44
		.amdhsa_user_sgpr_count 2
		.amdhsa_user_sgpr_dispatch_ptr 0
		.amdhsa_user_sgpr_queue_ptr 0
		.amdhsa_user_sgpr_kernarg_segment_ptr 1
		.amdhsa_user_sgpr_dispatch_id 0
		.amdhsa_user_sgpr_kernarg_preload_length 0
		.amdhsa_user_sgpr_kernarg_preload_offset 0
		.amdhsa_user_sgpr_private_segment_size 0
		.amdhsa_uses_dynamic_stack 0
		.amdhsa_enable_private_segment 0
		.amdhsa_system_sgpr_workgroup_id_x 1
		.amdhsa_system_sgpr_workgroup_id_y 0
		.amdhsa_system_sgpr_workgroup_id_z 0
		.amdhsa_system_sgpr_workgroup_info 0
		.amdhsa_system_vgpr_workitem_id 0
		.amdhsa_next_free_vgpr 11
		.amdhsa_next_free_sgpr 24
		.amdhsa_accum_offset 12
		.amdhsa_reserve_vcc 1
		.amdhsa_float_round_mode_32 0
		.amdhsa_float_round_mode_16_64 0
		.amdhsa_float_denorm_mode_32 3
		.amdhsa_float_denorm_mode_16_64 3
		.amdhsa_dx10_clamp 1
		.amdhsa_ieee_mode 1
		.amdhsa_fp16_overflow 0
		.amdhsa_tg_split 0
		.amdhsa_exception_fp_ieee_invalid_op 0
		.amdhsa_exception_fp_denorm_src 0
		.amdhsa_exception_fp_ieee_div_zero 0
		.amdhsa_exception_fp_ieee_overflow 0
		.amdhsa_exception_fp_ieee_underflow 0
		.amdhsa_exception_fp_ieee_inexact 0
		.amdhsa_exception_int_div_zero 0
	.end_amdhsa_kernel
	.section	.text._ZN7rocprim17ROCPRIM_304000_NS6detail33device_block_merge_oddeven_kernelINS1_37wrapped_merge_sort_block_merge_configINS0_14default_configEiN2at4cuda3cub6detail10OpaqueTypeILi4EEEEEPiSC_PSA_SD_jNS1_19radix_merge_compareILb0ELb1EiNS0_19identity_decomposerEEEEEvT0_T1_T2_T3_T4_SL_T5_,"axG",@progbits,_ZN7rocprim17ROCPRIM_304000_NS6detail33device_block_merge_oddeven_kernelINS1_37wrapped_merge_sort_block_merge_configINS0_14default_configEiN2at4cuda3cub6detail10OpaqueTypeILi4EEEEEPiSC_PSA_SD_jNS1_19radix_merge_compareILb0ELb1EiNS0_19identity_decomposerEEEEEvT0_T1_T2_T3_T4_SL_T5_,comdat
.Lfunc_end22:
	.size	_ZN7rocprim17ROCPRIM_304000_NS6detail33device_block_merge_oddeven_kernelINS1_37wrapped_merge_sort_block_merge_configINS0_14default_configEiN2at4cuda3cub6detail10OpaqueTypeILi4EEEEEPiSC_PSA_SD_jNS1_19radix_merge_compareILb0ELb1EiNS0_19identity_decomposerEEEEEvT0_T1_T2_T3_T4_SL_T5_, .Lfunc_end22-_ZN7rocprim17ROCPRIM_304000_NS6detail33device_block_merge_oddeven_kernelINS1_37wrapped_merge_sort_block_merge_configINS0_14default_configEiN2at4cuda3cub6detail10OpaqueTypeILi4EEEEEPiSC_PSA_SD_jNS1_19radix_merge_compareILb0ELb1EiNS0_19identity_decomposerEEEEEvT0_T1_T2_T3_T4_SL_T5_
                                        ; -- End function
	.set _ZN7rocprim17ROCPRIM_304000_NS6detail33device_block_merge_oddeven_kernelINS1_37wrapped_merge_sort_block_merge_configINS0_14default_configEiN2at4cuda3cub6detail10OpaqueTypeILi4EEEEEPiSC_PSA_SD_jNS1_19radix_merge_compareILb0ELb1EiNS0_19identity_decomposerEEEEEvT0_T1_T2_T3_T4_SL_T5_.num_vgpr, 11
	.set _ZN7rocprim17ROCPRIM_304000_NS6detail33device_block_merge_oddeven_kernelINS1_37wrapped_merge_sort_block_merge_configINS0_14default_configEiN2at4cuda3cub6detail10OpaqueTypeILi4EEEEEPiSC_PSA_SD_jNS1_19radix_merge_compareILb0ELb1EiNS0_19identity_decomposerEEEEEvT0_T1_T2_T3_T4_SL_T5_.num_agpr, 0
	.set _ZN7rocprim17ROCPRIM_304000_NS6detail33device_block_merge_oddeven_kernelINS1_37wrapped_merge_sort_block_merge_configINS0_14default_configEiN2at4cuda3cub6detail10OpaqueTypeILi4EEEEEPiSC_PSA_SD_jNS1_19radix_merge_compareILb0ELb1EiNS0_19identity_decomposerEEEEEvT0_T1_T2_T3_T4_SL_T5_.numbered_sgpr, 24
	.set _ZN7rocprim17ROCPRIM_304000_NS6detail33device_block_merge_oddeven_kernelINS1_37wrapped_merge_sort_block_merge_configINS0_14default_configEiN2at4cuda3cub6detail10OpaqueTypeILi4EEEEEPiSC_PSA_SD_jNS1_19radix_merge_compareILb0ELb1EiNS0_19identity_decomposerEEEEEvT0_T1_T2_T3_T4_SL_T5_.num_named_barrier, 0
	.set _ZN7rocprim17ROCPRIM_304000_NS6detail33device_block_merge_oddeven_kernelINS1_37wrapped_merge_sort_block_merge_configINS0_14default_configEiN2at4cuda3cub6detail10OpaqueTypeILi4EEEEEPiSC_PSA_SD_jNS1_19radix_merge_compareILb0ELb1EiNS0_19identity_decomposerEEEEEvT0_T1_T2_T3_T4_SL_T5_.private_seg_size, 0
	.set _ZN7rocprim17ROCPRIM_304000_NS6detail33device_block_merge_oddeven_kernelINS1_37wrapped_merge_sort_block_merge_configINS0_14default_configEiN2at4cuda3cub6detail10OpaqueTypeILi4EEEEEPiSC_PSA_SD_jNS1_19radix_merge_compareILb0ELb1EiNS0_19identity_decomposerEEEEEvT0_T1_T2_T3_T4_SL_T5_.uses_vcc, 1
	.set _ZN7rocprim17ROCPRIM_304000_NS6detail33device_block_merge_oddeven_kernelINS1_37wrapped_merge_sort_block_merge_configINS0_14default_configEiN2at4cuda3cub6detail10OpaqueTypeILi4EEEEEPiSC_PSA_SD_jNS1_19radix_merge_compareILb0ELb1EiNS0_19identity_decomposerEEEEEvT0_T1_T2_T3_T4_SL_T5_.uses_flat_scratch, 0
	.set _ZN7rocprim17ROCPRIM_304000_NS6detail33device_block_merge_oddeven_kernelINS1_37wrapped_merge_sort_block_merge_configINS0_14default_configEiN2at4cuda3cub6detail10OpaqueTypeILi4EEEEEPiSC_PSA_SD_jNS1_19radix_merge_compareILb0ELb1EiNS0_19identity_decomposerEEEEEvT0_T1_T2_T3_T4_SL_T5_.has_dyn_sized_stack, 0
	.set _ZN7rocprim17ROCPRIM_304000_NS6detail33device_block_merge_oddeven_kernelINS1_37wrapped_merge_sort_block_merge_configINS0_14default_configEiN2at4cuda3cub6detail10OpaqueTypeILi4EEEEEPiSC_PSA_SD_jNS1_19radix_merge_compareILb0ELb1EiNS0_19identity_decomposerEEEEEvT0_T1_T2_T3_T4_SL_T5_.has_recursion, 0
	.set _ZN7rocprim17ROCPRIM_304000_NS6detail33device_block_merge_oddeven_kernelINS1_37wrapped_merge_sort_block_merge_configINS0_14default_configEiN2at4cuda3cub6detail10OpaqueTypeILi4EEEEEPiSC_PSA_SD_jNS1_19radix_merge_compareILb0ELb1EiNS0_19identity_decomposerEEEEEvT0_T1_T2_T3_T4_SL_T5_.has_indirect_call, 0
	.section	.AMDGPU.csdata,"",@progbits
; Kernel info:
; codeLenInByte = 780
; TotalNumSgprs: 30
; NumVgprs: 11
; NumAgprs: 0
; TotalNumVgprs: 11
; ScratchSize: 0
; MemoryBound: 0
; FloatMode: 240
; IeeeMode: 1
; LDSByteSize: 0 bytes/workgroup (compile time only)
; SGPRBlocks: 3
; VGPRBlocks: 1
; NumSGPRsForWavesPerEU: 30
; NumVGPRsForWavesPerEU: 11
; AccumOffset: 12
; Occupancy: 8
; WaveLimiterHint : 0
; COMPUTE_PGM_RSRC2:SCRATCH_EN: 0
; COMPUTE_PGM_RSRC2:USER_SGPR: 2
; COMPUTE_PGM_RSRC2:TRAP_HANDLER: 0
; COMPUTE_PGM_RSRC2:TGID_X_EN: 1
; COMPUTE_PGM_RSRC2:TGID_Y_EN: 0
; COMPUTE_PGM_RSRC2:TGID_Z_EN: 0
; COMPUTE_PGM_RSRC2:TIDIG_COMP_CNT: 0
; COMPUTE_PGM_RSRC3_GFX90A:ACCUM_OFFSET: 2
; COMPUTE_PGM_RSRC3_GFX90A:TG_SPLIT: 0
	.section	.text._ZN7rocprim17ROCPRIM_304000_NS6detail26onesweep_histograms_kernelINS1_34wrapped_radix_sort_onesweep_configINS0_14default_configEiN2at4cuda3cub6detail10OpaqueTypeILi4EEEEELb0EPKimNS0_19identity_decomposerEEEvT1_PT2_SG_SG_T3_jj,"axG",@progbits,_ZN7rocprim17ROCPRIM_304000_NS6detail26onesweep_histograms_kernelINS1_34wrapped_radix_sort_onesweep_configINS0_14default_configEiN2at4cuda3cub6detail10OpaqueTypeILi4EEEEELb0EPKimNS0_19identity_decomposerEEEvT1_PT2_SG_SG_T3_jj,comdat
	.protected	_ZN7rocprim17ROCPRIM_304000_NS6detail26onesweep_histograms_kernelINS1_34wrapped_radix_sort_onesweep_configINS0_14default_configEiN2at4cuda3cub6detail10OpaqueTypeILi4EEEEELb0EPKimNS0_19identity_decomposerEEEvT1_PT2_SG_SG_T3_jj ; -- Begin function _ZN7rocprim17ROCPRIM_304000_NS6detail26onesweep_histograms_kernelINS1_34wrapped_radix_sort_onesweep_configINS0_14default_configEiN2at4cuda3cub6detail10OpaqueTypeILi4EEEEELb0EPKimNS0_19identity_decomposerEEEvT1_PT2_SG_SG_T3_jj
	.globl	_ZN7rocprim17ROCPRIM_304000_NS6detail26onesweep_histograms_kernelINS1_34wrapped_radix_sort_onesweep_configINS0_14default_configEiN2at4cuda3cub6detail10OpaqueTypeILi4EEEEELb0EPKimNS0_19identity_decomposerEEEvT1_PT2_SG_SG_T3_jj
	.p2align	8
	.type	_ZN7rocprim17ROCPRIM_304000_NS6detail26onesweep_histograms_kernelINS1_34wrapped_radix_sort_onesweep_configINS0_14default_configEiN2at4cuda3cub6detail10OpaqueTypeILi4EEEEELb0EPKimNS0_19identity_decomposerEEEvT1_PT2_SG_SG_T3_jj,@function
_ZN7rocprim17ROCPRIM_304000_NS6detail26onesweep_histograms_kernelINS1_34wrapped_radix_sort_onesweep_configINS0_14default_configEiN2at4cuda3cub6detail10OpaqueTypeILi4EEEEELb0EPKimNS0_19identity_decomposerEEEvT1_PT2_SG_SG_T3_jj: ; @_ZN7rocprim17ROCPRIM_304000_NS6detail26onesweep_histograms_kernelINS1_34wrapped_radix_sort_onesweep_configINS0_14default_configEiN2at4cuda3cub6detail10OpaqueTypeILi4EEEEELb0EPKimNS0_19identity_decomposerEEEvT1_PT2_SG_SG_T3_jj
; %bb.0:
	s_load_dwordx8 s[24:31], s[0:1], 0x0
	s_load_dwordx2 s[34:35], s[0:1], 0x24
	v_mov_b32_e32 v2, s2
	s_mul_hi_u32 s1, s2, 0x6000
	s_mulk_i32 s2, 0x6000
	v_mov_b32_e32 v3, 0
	s_waitcnt lgkmcnt(0)
	s_add_u32 s0, s24, s2
	v_cmp_le_u64_e32 vcc, s[30:31], v[2:3]
	s_addc_u32 s1, s25, s1
	v_lshlrev_b32_e32 v2, 2, v0
	v_and_b32_e32 v8, 3, v0
	v_lshl_add_u64 v[4:5], s[0:1], 0, v[2:3]
	s_mov_b64 s[0:1], -1
	s_cbranch_vccz .LBB23_87
; %bb.1:
	s_mul_i32 s24, s30, 0xffffe800
	s_add_i32 s24, s24, s28
	v_cmp_gt_u32_e64 s[22:23], s24, v0
                                        ; implicit-def: $vgpr18
	s_and_saveexec_b64 s[0:1], s[22:23]
	s_cbranch_execz .LBB23_3
; %bb.2:
	global_load_dword v1, v[4:5], off
	s_waitcnt vmcnt(0)
	v_xor_b32_e32 v18, 0x80000000, v1
.LBB23_3:
	s_or_b64 exec, exec, s[0:1]
	v_or_b32_e32 v1, 0x200, v0
	v_cmp_gt_u32_e64 s[20:21], s24, v1
                                        ; implicit-def: $vgpr17
	s_and_saveexec_b64 s[0:1], s[20:21]
	s_cbranch_execz .LBB23_5
; %bb.4:
	global_load_dword v1, v[4:5], off offset:2048
	s_waitcnt vmcnt(0)
	v_xor_b32_e32 v17, 0x80000000, v1
.LBB23_5:
	s_or_b64 exec, exec, s[0:1]
	v_or_b32_e32 v1, 0x400, v0
	v_cmp_gt_u32_e64 s[18:19], s24, v1
                                        ; implicit-def: $vgpr16
	s_and_saveexec_b64 s[0:1], s[18:19]
	s_cbranch_execz .LBB23_7
; %bb.6:
	v_add_co_u32_e32 v6, vcc, 0x1000, v4
	s_nop 1
	v_addc_co_u32_e32 v7, vcc, 0, v5, vcc
	global_load_dword v1, v[6:7], off
	s_waitcnt vmcnt(0)
	v_xor_b32_e32 v16, 0x80000000, v1
.LBB23_7:
	s_or_b64 exec, exec, s[0:1]
	v_or_b32_e32 v1, 0x600, v0
	v_cmp_gt_u32_e64 s[16:17], s24, v1
                                        ; implicit-def: $vgpr15
	s_and_saveexec_b64 s[0:1], s[16:17]
	s_cbranch_execz .LBB23_9
; %bb.8:
	v_add_co_u32_e32 v6, vcc, 0x1000, v4
	s_nop 1
	v_addc_co_u32_e32 v7, vcc, 0, v5, vcc
	global_load_dword v1, v[6:7], off offset:2048
	s_waitcnt vmcnt(0)
	v_xor_b32_e32 v15, 0x80000000, v1
.LBB23_9:
	s_or_b64 exec, exec, s[0:1]
	v_or_b32_e32 v1, 0x800, v0
	v_cmp_gt_u32_e64 s[14:15], s24, v1
                                        ; implicit-def: $vgpr14
	s_and_saveexec_b64 s[0:1], s[14:15]
	s_cbranch_execz .LBB23_11
; %bb.10:
	v_add_co_u32_e32 v6, vcc, 0x2000, v4
	s_nop 1
	v_addc_co_u32_e32 v7, vcc, 0, v5, vcc
	global_load_dword v1, v[6:7], off
	s_waitcnt vmcnt(0)
	v_xor_b32_e32 v14, 0x80000000, v1
.LBB23_11:
	s_or_b64 exec, exec, s[0:1]
	v_or_b32_e32 v1, 0xa00, v0
	v_cmp_gt_u32_e64 s[12:13], s24, v1
                                        ; implicit-def: $vgpr13
	s_and_saveexec_b64 s[0:1], s[12:13]
	s_cbranch_execz .LBB23_13
; %bb.12:
	v_add_co_u32_e32 v6, vcc, 0x2000, v4
	s_nop 1
	v_addc_co_u32_e32 v7, vcc, 0, v5, vcc
	global_load_dword v1, v[6:7], off offset:2048
	s_waitcnt vmcnt(0)
	v_xor_b32_e32 v13, 0x80000000, v1
.LBB23_13:
	s_or_b64 exec, exec, s[0:1]
	v_or_b32_e32 v1, 0xc00, v0
	v_cmp_gt_u32_e64 s[10:11], s24, v1
                                        ; implicit-def: $vgpr12
	s_and_saveexec_b64 s[0:1], s[10:11]
	s_cbranch_execz .LBB23_15
; %bb.14:
	v_add_co_u32_e32 v6, vcc, 0x3000, v4
	s_nop 1
	v_addc_co_u32_e32 v7, vcc, 0, v5, vcc
	global_load_dword v1, v[6:7], off
	s_waitcnt vmcnt(0)
	v_xor_b32_e32 v12, 0x80000000, v1
.LBB23_15:
	s_or_b64 exec, exec, s[0:1]
	v_or_b32_e32 v1, 0xe00, v0
	v_cmp_gt_u32_e64 s[8:9], s24, v1
                                        ; implicit-def: $vgpr11
	s_and_saveexec_b64 s[0:1], s[8:9]
	s_cbranch_execz .LBB23_17
; %bb.16:
	v_add_co_u32_e32 v6, vcc, 0x3000, v4
	s_nop 1
	v_addc_co_u32_e32 v7, vcc, 0, v5, vcc
	global_load_dword v1, v[6:7], off offset:2048
	s_waitcnt vmcnt(0)
	v_xor_b32_e32 v11, 0x80000000, v1
.LBB23_17:
	s_or_b64 exec, exec, s[0:1]
	v_or_b32_e32 v1, 0x1000, v0
	v_cmp_gt_u32_e64 s[6:7], s24, v1
                                        ; implicit-def: $vgpr10
	s_and_saveexec_b64 s[0:1], s[6:7]
	s_cbranch_execz .LBB23_19
; %bb.18:
	v_add_co_u32_e32 v6, vcc, 0x4000, v4
	s_nop 1
	v_addc_co_u32_e32 v7, vcc, 0, v5, vcc
	global_load_dword v1, v[6:7], off
	s_waitcnt vmcnt(0)
	v_xor_b32_e32 v10, 0x80000000, v1
.LBB23_19:
	s_or_b64 exec, exec, s[0:1]
	v_or_b32_e32 v1, 0x1200, v0
	v_cmp_gt_u32_e64 s[4:5], s24, v1
                                        ; implicit-def: $vgpr9
	s_and_saveexec_b64 s[0:1], s[4:5]
	s_cbranch_execz .LBB23_21
; %bb.20:
	v_add_co_u32_e32 v6, vcc, 0x4000, v4
	s_nop 1
	v_addc_co_u32_e32 v7, vcc, 0, v5, vcc
	global_load_dword v1, v[6:7], off offset:2048
	s_waitcnt vmcnt(0)
	v_xor_b32_e32 v9, 0x80000000, v1
.LBB23_21:
	s_or_b64 exec, exec, s[0:1]
	v_or_b32_e32 v1, 0x1400, v0
	v_cmp_gt_u32_e64 s[2:3], s24, v1
                                        ; implicit-def: $vgpr7
	s_and_saveexec_b64 s[0:1], s[2:3]
	s_cbranch_execz .LBB23_23
; %bb.22:
	v_add_co_u32_e32 v6, vcc, 0x5000, v4
	s_nop 1
	v_addc_co_u32_e32 v7, vcc, 0, v5, vcc
	global_load_dword v1, v[6:7], off
	s_waitcnt vmcnt(0)
	v_xor_b32_e32 v7, 0x80000000, v1
.LBB23_23:
	s_or_b64 exec, exec, s[0:1]
	v_or_b32_e32 v1, 0x1600, v0
	v_cmp_gt_u32_e64 s[0:1], s24, v1
                                        ; implicit-def: $vgpr3
	s_and_saveexec_b64 s[24:25], s[0:1]
	s_cbranch_execz .LBB23_25
; %bb.24:
	v_add_co_u32_e32 v20, vcc, 0x5000, v4
	s_nop 1
	v_addc_co_u32_e32 v21, vcc, 0, v5, vcc
	global_load_dword v1, v[20:21], off offset:2048
	s_waitcnt vmcnt(0)
	v_xor_b32_e32 v3, 0x80000000, v1
.LBB23_25:
	s_or_b64 exec, exec, s[24:25]
	s_movk_i32 s24, 0x380
	v_cmp_gt_u32_e32 vcc, s24, v0
	s_and_saveexec_b64 s[28:29], vcc
	s_cbranch_execz .LBB23_32
; %bb.26:
	s_movk_i32 s24, 0x180
	v_sub_u32_e64 v1, s24, v0 clamp
	v_add_u32_e32 v1, 0x1ff, v1
	v_lshrrev_b32_e32 v6, 9, v1
	s_mov_b32 s30, 0
	v_mov_b32_e32 v1, v6
	v_lshlrev_b32_e32 v19, 2, v0
	s_mov_b32 s31, 1
	s_mov_b64 s[36:37], 0
	v_mov_b32_e32 v20, 0
	s_mov_b32 s38, s30
	s_branch .LBB23_28
.LBB23_27:                              ;   in Loop: Header=BB23_28 Depth=1
	s_or_b64 exec, exec, s[24:25]
	s_add_i32 s38, s38, 2
	v_cmp_eq_u32_e64 s[24:25], 2, s38
	s_or_b64 s[36:37], s[24:25], s[36:37]
	v_add_u32_e32 v19, 0x1000, v19
	s_andn2_b64 exec, exec, s[36:37]
	s_cbranch_execz .LBB23_32
.LBB23_28:                              ; =>This Inner Loop Header: Depth=1
	s_mov_b32 s39, s38
	s_or_b64 s[24:25], s[38:39], s[30:31]
	v_cmp_le_u32_e32 vcc, s25, v1
	v_cmp_le_u32_e64 s[24:25], s24, v6
	s_and_saveexec_b64 s[40:41], s[24:25]
; %bb.29:                               ;   in Loop: Header=BB23_28 Depth=1
	ds_write_b32 v19, v20
; %bb.30:                               ;   in Loop: Header=BB23_28 Depth=1
	s_or_b64 exec, exec, s[40:41]
	s_and_saveexec_b64 s[24:25], vcc
	s_cbranch_execz .LBB23_27
; %bb.31:                               ;   in Loop: Header=BB23_28 Depth=1
	ds_write_b32 v19, v20 offset:2048
	s_branch .LBB23_27
.LBB23_32:
	s_or_b64 exec, exec, s[28:29]
	s_cmp_gt_u32 s35, s34
	s_cselect_b64 s[24:25], -1, 0
	s_cmp_le_u32 s35, s34
	s_waitcnt lgkmcnt(0)
	s_barrier
	s_cbranch_scc1 .LBB23_81
; %bb.33:
	v_lshlrev_b32_e32 v1, 2, v8
	s_sub_i32 s30, s35, s34
	v_mov_b32_e32 v6, 1
	s_mov_b32 s31, s30
	v_mov_b32_e32 v19, v1
	s_mov_b32 s33, s34
	s_branch .LBB23_35
.LBB23_34:                              ;   in Loop: Header=BB23_35 Depth=1
	s_or_b64 exec, exec, s[28:29]
	s_add_i32 s33, s33, 5
	s_add_i32 s31, s31, -5
	s_cmp_lt_u32 s33, s35
	v_add_u32_e32 v19, 0x200, v19
	s_cbranch_scc0 .LBB23_37
.LBB23_35:                              ; =>This Inner Loop Header: Depth=1
	s_and_saveexec_b64 s[28:29], s[22:23]
	s_cbranch_execz .LBB23_34
; %bb.36:                               ;   in Loop: Header=BB23_35 Depth=1
	s_min_u32 s36, s31, 5
	v_lshrrev_b32_e32 v20, s33, v18
	v_bfe_u32 v20, v20, 0, s36
	v_lshl_add_u32 v20, v20, 4, v19
	ds_add_u32 v20, v6
	s_branch .LBB23_34
.LBB23_37:
	v_mov_b32_e32 v6, 1
	s_mov_b32 s28, s30
	v_mov_b32_e32 v18, v1
	s_mov_b32 s29, s34
	s_branch .LBB23_39
.LBB23_38:                              ;   in Loop: Header=BB23_39 Depth=1
	s_or_b64 exec, exec, s[22:23]
	s_add_i32 s29, s29, 5
	s_add_i32 s28, s28, -5
	s_cmp_lt_u32 s29, s35
	v_add_u32_e32 v18, 0x200, v18
	s_cbranch_scc0 .LBB23_41
.LBB23_39:                              ; =>This Inner Loop Header: Depth=1
	s_and_saveexec_b64 s[22:23], s[20:21]
	s_cbranch_execz .LBB23_38
; %bb.40:                               ;   in Loop: Header=BB23_39 Depth=1
	s_min_u32 s31, s28, 5
	v_lshrrev_b32_e32 v19, s29, v17
	v_bfe_u32 v19, v19, 0, s31
	v_lshl_add_u32 v19, v19, 4, v18
	ds_add_u32 v19, v6
	s_branch .LBB23_38
.LBB23_41:
	;; [unrolled: 23-line block ×11, first 2 shown]
	v_mov_b32_e32 v6, 1
	s_mov_b32 s4, s34
	s_branch .LBB23_79
.LBB23_78:                              ;   in Loop: Header=BB23_79 Depth=1
	s_or_b64 exec, exec, s[2:3]
	s_add_i32 s4, s4, 5
	s_add_i32 s30, s30, -5
	s_cmp_lt_u32 s4, s35
	v_add_u32_e32 v1, 0x200, v1
	s_cbranch_scc0 .LBB23_81
.LBB23_79:                              ; =>This Inner Loop Header: Depth=1
	s_and_saveexec_b64 s[2:3], s[0:1]
	s_cbranch_execz .LBB23_78
; %bb.80:                               ;   in Loop: Header=BB23_79 Depth=1
	s_min_u32 s5, s30, 5
	v_lshrrev_b32_e32 v7, s4, v3
	v_bfe_u32 v7, v7, 0, s5
	v_lshl_add_u32 v7, v7, 4, v1
	ds_add_u32 v7, v6
	s_branch .LBB23_78
.LBB23_81:
	s_and_b64 vcc, exec, s[24:25]
	s_waitcnt lgkmcnt(0)
	s_barrier
	s_cbranch_vccz .LBB23_86
; %bb.82:
	v_cmp_gt_u32_e32 vcc, 32, v0
	v_lshlrev_b32_e32 v1, 4, v0
	v_mov_b32_e32 v7, 0
	v_mov_b32_e32 v6, v0
	s_mov_b32 s2, s34
	s_branch .LBB23_84
.LBB23_83:                              ;   in Loop: Header=BB23_84 Depth=1
	s_or_b64 exec, exec, s[0:1]
	s_add_i32 s2, s2, 5
	v_add_u32_e32 v6, 32, v6
	s_cmp_lt_u32 s2, s35
	v_add_u32_e32 v1, 0x200, v1
	s_cbranch_scc0 .LBB23_86
.LBB23_84:                              ; =>This Inner Loop Header: Depth=1
	s_and_saveexec_b64 s[0:1], vcc
	s_cbranch_execz .LBB23_83
; %bb.85:                               ;   in Loop: Header=BB23_84 Depth=1
	ds_read2_b32 v[10:11], v1 offset1:1
	ds_read2_b32 v[12:13], v1 offset0:2 offset1:3
	v_lshl_add_u64 v[14:15], v[6:7], 3, s[26:27]
	s_waitcnt lgkmcnt(1)
	v_add_u32_e32 v3, v11, v10
	s_waitcnt lgkmcnt(0)
	v_add3_u32 v10, v3, v12, v13
	v_mov_b32_e32 v11, v7
	global_atomic_add_x2 v[14:15], v[10:11], off
	s_branch .LBB23_83
.LBB23_86:
	s_mov_b64 s[0:1], 0
.LBB23_87:
	s_and_b64 vcc, exec, s[0:1]
	s_cbranch_vccz .LBB23_137
; %bb.88:
	v_add_co_u32_e32 v6, vcc, 0x1000, v4
	s_cmp_lg_u32 s34, 0
	s_nop 0
	v_addc_co_u32_e32 v7, vcc, 0, v5, vcc
	v_add_co_u32_e32 v18, vcc, 0x2000, v4
	s_cselect_b64 s[0:1], -1, 0
	s_nop 0
	v_addc_co_u32_e32 v19, vcc, 0, v5, vcc
	v_add_co_u32_e32 v20, vcc, 0x3000, v4
	s_cmp_lg_u32 s35, 32
	s_nop 0
	v_addc_co_u32_e32 v21, vcc, 0, v5, vcc
	global_load_dword v17, v[4:5], off
	global_load_dword v16, v[4:5], off offset:2048
	global_load_dword v15, v[6:7], off
	global_load_dword v14, v[6:7], off offset:2048
	;; [unrolled: 2-line block ×4, first 2 shown]
	v_add_co_u32_e32 v18, vcc, 0x4000, v4
	s_cselect_b64 s[2:3], -1, 0
	s_nop 0
	v_addc_co_u32_e32 v19, vcc, 0, v5, vcc
	v_add_co_u32_e32 v4, vcc, 0x5000, v4
	s_or_b64 s[4:5], s[0:1], s[2:3]
	s_nop 0
	v_addc_co_u32_e32 v5, vcc, 0, v5, vcc
	global_load_dword v9, v[18:19], off
	global_load_dword v7, v[18:19], off offset:2048
	global_load_dword v6, v[4:5], off
	global_load_dword v3, v[4:5], off offset:2048
	s_movk_i32 s0, 0x380
	v_cmp_gt_u32_e64 s[0:1], s0, v0
	s_mov_b64 s[2:3], -1
	s_and_b64 vcc, exec, s[4:5]
	s_cbranch_vccz .LBB23_127
; %bb.89:
	s_and_saveexec_b64 s[4:5], s[0:1]
	s_cbranch_execz .LBB23_96
; %bb.90:
	s_movk_i32 s2, 0x180
	v_sub_u32_e64 v1, s2, v0 clamp
	v_add_u32_e32 v1, 0x1ff, v1
	v_lshrrev_b32_e32 v4, 9, v1
	s_mov_b32 s6, 0
	v_mov_b32_e32 v1, v4
	v_lshlrev_b32_e32 v5, 2, v0
	s_mov_b32 s7, 1
	s_mov_b64 s[8:9], 0
	v_mov_b32_e32 v18, 0
	s_mov_b32 s10, s6
	s_branch .LBB23_92
.LBB23_91:                              ;   in Loop: Header=BB23_92 Depth=1
	s_or_b64 exec, exec, s[2:3]
	s_add_i32 s10, s10, 2
	v_cmp_eq_u32_e64 s[2:3], 2, s10
	s_or_b64 s[8:9], s[2:3], s[8:9]
	v_add_u32_e32 v5, 0x1000, v5
	s_andn2_b64 exec, exec, s[8:9]
	s_cbranch_execz .LBB23_96
.LBB23_92:                              ; =>This Inner Loop Header: Depth=1
	s_mov_b32 s11, s10
	s_or_b64 s[2:3], s[10:11], s[6:7]
	v_cmp_le_u32_e32 vcc, s3, v1
	v_cmp_le_u32_e64 s[2:3], s2, v4
	s_and_saveexec_b64 s[12:13], s[2:3]
; %bb.93:                               ;   in Loop: Header=BB23_92 Depth=1
	ds_write_b32 v5, v18
; %bb.94:                               ;   in Loop: Header=BB23_92 Depth=1
	s_or_b64 exec, exec, s[12:13]
	s_and_saveexec_b64 s[2:3], vcc
	s_cbranch_execz .LBB23_91
; %bb.95:                               ;   in Loop: Header=BB23_92 Depth=1
	ds_write_b32 v5, v18 offset:2048
	s_branch .LBB23_91
.LBB23_96:
	s_or_b64 exec, exec, s[4:5]
	s_cmp_gt_u32 s35, s34
	s_cselect_b64 s[2:3], -1, 0
	s_cmp_le_u32 s35, s34
	s_waitcnt lgkmcnt(0)
	s_barrier
	s_cbranch_scc1 .LBB23_121
; %bb.97:
	v_lshlrev_b32_e32 v1, 2, v8
	s_sub_i32 s4, s35, s34
	s_waitcnt vmcnt(11)
	v_xor_b32_e32 v4, 0x80000000, v17
	v_mov_b32_e32 v5, 1
	s_mov_b32 s5, s4
	v_mov_b32_e32 v18, v1
	s_mov_b32 s6, s34
.LBB23_98:                              ; =>This Inner Loop Header: Depth=1
	s_min_u32 s7, s5, 5
	v_lshrrev_b32_e32 v19, s6, v4
	v_bfe_u32 v19, v19, 0, s7
	v_lshl_add_u32 v19, v19, 4, v18
	ds_add_u32 v19, v5
	s_add_i32 s6, s6, 5
	s_add_i32 s5, s5, -5
	s_cmp_lt_u32 s6, s35
	v_add_u32_e32 v18, 0x200, v18
	s_cbranch_scc1 .LBB23_98
; %bb.99:
	s_waitcnt vmcnt(10)
	v_xor_b32_e32 v4, 0x80000000, v16
	v_mov_b32_e32 v5, 1
	s_mov_b32 s5, s4
	v_mov_b32_e32 v18, v1
	s_mov_b32 s6, s34
.LBB23_100:                             ; =>This Inner Loop Header: Depth=1
	s_min_u32 s7, s5, 5
	v_lshrrev_b32_e32 v19, s6, v4
	v_bfe_u32 v19, v19, 0, s7
	v_lshl_add_u32 v19, v19, 4, v18
	ds_add_u32 v19, v5
	s_add_i32 s6, s6, 5
	s_add_i32 s5, s5, -5
	s_cmp_lt_u32 s6, s35
	v_add_u32_e32 v18, 0x200, v18
	s_cbranch_scc1 .LBB23_100
; %bb.101:
	s_waitcnt vmcnt(9)
	v_xor_b32_e32 v4, 0x80000000, v15
	v_mov_b32_e32 v5, 1
	s_mov_b32 s5, s4
	v_mov_b32_e32 v18, v1
	s_mov_b32 s6, s34
.LBB23_102:                             ; =>This Inner Loop Header: Depth=1
	s_min_u32 s7, s5, 5
	v_lshrrev_b32_e32 v19, s6, v4
	v_bfe_u32 v19, v19, 0, s7
	v_lshl_add_u32 v19, v19, 4, v18
	ds_add_u32 v19, v5
	s_add_i32 s6, s6, 5
	s_add_i32 s5, s5, -5
	s_cmp_lt_u32 s6, s35
	v_add_u32_e32 v18, 0x200, v18
	s_cbranch_scc1 .LBB23_102
	;; [unrolled: 18-line block ×10, first 2 shown]
; %bb.119:
	s_waitcnt vmcnt(0)
	v_xor_b32_e32 v4, 0x80000000, v3
	v_mov_b32_e32 v5, 1
	s_mov_b32 s5, s34
.LBB23_120:                             ; =>This Inner Loop Header: Depth=1
	s_min_u32 s6, s4, 5
	v_lshrrev_b32_e32 v18, s5, v4
	v_bfe_u32 v18, v18, 0, s6
	v_lshl_add_u32 v18, v18, 4, v1
	ds_add_u32 v18, v5
	s_add_i32 s5, s5, 5
	s_add_i32 s4, s4, -5
	s_cmp_lt_u32 s5, s35
	v_add_u32_e32 v1, 0x200, v1
	s_cbranch_scc1 .LBB23_120
.LBB23_121:
	s_and_b64 vcc, exec, s[2:3]
	s_waitcnt lgkmcnt(0)
	s_barrier
	s_cbranch_vccz .LBB23_126
; %bb.122:
	v_cmp_gt_u32_e32 vcc, 32, v0
	v_lshlrev_b32_e32 v1, 4, v0
	v_mov_b32_e32 v5, 0
	v_mov_b32_e32 v4, v0
	s_branch .LBB23_124
.LBB23_123:                             ;   in Loop: Header=BB23_124 Depth=1
	s_or_b64 exec, exec, s[2:3]
	s_add_i32 s34, s34, 5
	v_add_u32_e32 v4, 32, v4
	s_cmp_ge_u32 s34, s35
	v_add_u32_e32 v1, 0x200, v1
	s_cbranch_scc1 .LBB23_126
.LBB23_124:                             ; =>This Inner Loop Header: Depth=1
	s_and_saveexec_b64 s[2:3], vcc
	s_cbranch_execz .LBB23_123
; %bb.125:                              ;   in Loop: Header=BB23_124 Depth=1
	ds_read2_b32 v[18:19], v1 offset1:1
	ds_read2_b32 v[20:21], v1 offset0:2 offset1:3
	v_lshl_add_u64 v[22:23], v[4:5], 3, s[26:27]
	s_waitcnt lgkmcnt(1)
	v_add_u32_e32 v18, v19, v18
	s_waitcnt lgkmcnt(0)
	v_add3_u32 v18, v18, v20, v21
	v_mov_b32_e32 v19, v5
	global_atomic_add_x2 v[22:23], v[18:19], off
	s_branch .LBB23_123
.LBB23_126:
	s_mov_b64 s[2:3], 0
.LBB23_127:
	s_and_b64 vcc, exec, s[2:3]
	s_cbranch_vccz .LBB23_137
; %bb.128:
	s_and_saveexec_b64 s[2:3], s[0:1]
	s_cbranch_execz .LBB23_135
; %bb.129:
	s_movk_i32 s0, 0x180
	v_sub_u32_e64 v1, s0, v0 clamp
	v_add_u32_e32 v1, 0x1ff, v1
	v_lshrrev_b32_e32 v4, 9, v1
	s_mov_b32 s4, 0
	v_mov_b32_e32 v1, v4
	s_mov_b32 s5, 1
	s_mov_b64 s[6:7], 0
	v_mov_b32_e32 v5, 0
	s_mov_b32 s8, s4
	s_branch .LBB23_131
.LBB23_130:                             ;   in Loop: Header=BB23_131 Depth=1
	s_or_b64 exec, exec, s[0:1]
	s_add_i32 s8, s8, 2
	v_cmp_eq_u32_e64 s[0:1], 2, s8
	s_or_b64 s[6:7], s[0:1], s[6:7]
	v_add_u32_e32 v2, 0x1000, v2
	s_andn2_b64 exec, exec, s[6:7]
	s_cbranch_execz .LBB23_135
.LBB23_131:                             ; =>This Inner Loop Header: Depth=1
	s_mov_b32 s9, s8
	s_or_b64 s[0:1], s[8:9], s[4:5]
	v_cmp_le_u32_e32 vcc, s1, v1
	v_cmp_le_u32_e64 s[0:1], s0, v4
	s_and_saveexec_b64 s[10:11], s[0:1]
; %bb.132:                              ;   in Loop: Header=BB23_131 Depth=1
	ds_write_b32 v2, v5
; %bb.133:                              ;   in Loop: Header=BB23_131 Depth=1
	s_or_b64 exec, exec, s[10:11]
	s_and_saveexec_b64 s[0:1], vcc
	s_cbranch_execz .LBB23_130
; %bb.134:                              ;   in Loop: Header=BB23_131 Depth=1
	ds_write_b32 v2, v5 offset:2048
	s_branch .LBB23_130
.LBB23_135:
	s_or_b64 exec, exec, s[2:3]
	s_waitcnt vmcnt(11)
	v_lshlrev_b32_e32 v1, 4, v17
	v_lshlrev_b32_e32 v2, 2, v8
	s_movk_i32 s0, 0x1f0
	v_and_or_b32 v1, v1, s0, v2
	v_mov_b32_e32 v4, 1
	s_waitcnt lgkmcnt(0)
	s_barrier
	ds_add_u32 v1, v4
	v_lshrrev_b32_e32 v1, 1, v17
	v_and_or_b32 v1, v1, s0, v2
	ds_add_u32 v1, v4 offset:512
	v_lshrrev_b32_e32 v1, 6, v17
	v_and_or_b32 v1, v1, s0, v2
	ds_add_u32 v1, v4 offset:1024
	v_lshrrev_b32_e32 v1, 11, v17
	v_and_or_b32 v1, v1, s0, v2
	ds_add_u32 v1, v4 offset:1536
	v_lshrrev_b32_e32 v1, 16, v17
	v_and_or_b32 v1, v1, s0, v2
	ds_add_u32 v1, v4 offset:2048
	v_lshrrev_b32_e32 v1, 21, v17
	v_and_or_b32 v1, v1, s0, v2
	ds_add_u32 v1, v4 offset:2560
	v_lshrrev_b32_e32 v1, 26, v17
	v_and_b32_e32 v1, 48, v1
	v_bitop3_b32 v1, v1, v2, 32 bitop3:0xde
	ds_add_u32 v1, v4 offset:3072
	s_waitcnt vmcnt(10)
	v_lshlrev_b32_e32 v1, 4, v16
	v_and_or_b32 v1, v1, s0, v2
	ds_add_u32 v1, v4
	v_lshrrev_b32_e32 v1, 1, v16
	v_and_or_b32 v1, v1, s0, v2
	ds_add_u32 v1, v4 offset:512
	v_lshrrev_b32_e32 v1, 6, v16
	v_and_or_b32 v1, v1, s0, v2
	ds_add_u32 v1, v4 offset:1024
	v_lshrrev_b32_e32 v1, 11, v16
	v_and_or_b32 v1, v1, s0, v2
	ds_add_u32 v1, v4 offset:1536
	v_lshrrev_b32_e32 v1, 16, v16
	v_and_or_b32 v1, v1, s0, v2
	ds_add_u32 v1, v4 offset:2048
	v_lshrrev_b32_e32 v1, 21, v16
	v_and_or_b32 v1, v1, s0, v2
	ds_add_u32 v1, v4 offset:2560
	v_lshrrev_b32_e32 v1, 26, v16
	v_and_b32_e32 v1, 48, v1
	v_bitop3_b32 v1, v1, v2, 32 bitop3:0xde
	ds_add_u32 v1, v4 offset:3072
	s_waitcnt vmcnt(9)
	v_lshlrev_b32_e32 v1, 4, v15
	v_and_or_b32 v1, v1, s0, v2
	;; [unrolled: 23-line block ×11, first 2 shown]
	ds_add_u32 v1, v4
	v_lshrrev_b32_e32 v1, 1, v3
	v_and_or_b32 v1, v1, s0, v2
	ds_add_u32 v1, v4 offset:512
	v_lshrrev_b32_e32 v1, 6, v3
	v_and_or_b32 v1, v1, s0, v2
	ds_add_u32 v1, v4 offset:1024
	;; [unrolled: 3-line block ×5, first 2 shown]
	v_lshrrev_b32_e32 v1, 26, v3
	v_and_b32_e32 v1, 48, v1
	v_bitop3_b32 v1, v1, v2, 32 bitop3:0xde
	ds_add_u32 v1, v4 offset:3072
	v_cmp_gt_u32_e32 vcc, 32, v0
	s_waitcnt lgkmcnt(0)
	s_barrier
	s_and_saveexec_b64 s[0:1], vcc
	s_cbranch_execz .LBB23_137
; %bb.136:
	v_lshlrev_b32_e32 v6, 4, v0
	ds_read2_b32 v[2:3], v6 offset1:1
	ds_read2_b32 v[4:5], v6 offset0:2 offset1:3
	v_lshlrev_b32_e32 v7, 3, v0
	v_mov_b32_e32 v1, 0
	v_add_u32_e32 v8, 0x400, v6
	s_waitcnt lgkmcnt(1)
	v_add_u32_e32 v0, v3, v2
	s_waitcnt lgkmcnt(0)
	v_add3_u32 v0, v0, v4, v5
	global_atomic_add_x2 v7, v[0:1], s[26:27]
	ds_read2_b32 v[2:3], v6 offset0:128 offset1:129
	ds_read2_b32 v[4:5], v6 offset0:130 offset1:131
	v_add_u32_e32 v9, 0x408, v6
	s_waitcnt lgkmcnt(1)
	v_add_u32_e32 v0, v3, v2
	s_waitcnt lgkmcnt(0)
	v_add3_u32 v0, v0, v4, v5
	global_atomic_add_x2 v7, v[0:1], s[26:27] offset:256
	ds_read2_b32 v[2:3], v8 offset1:1
	ds_read2_b32 v[4:5], v9 offset1:1
	v_add_u32_e32 v8, 0x600, v6
	v_add_u32_e32 v9, 0x608, v6
	s_waitcnt lgkmcnt(1)
	v_add_u32_e32 v0, v3, v2
	s_waitcnt lgkmcnt(0)
	v_add3_u32 v0, v0, v4, v5
	global_atomic_add_x2 v7, v[0:1], s[26:27] offset:512
	ds_read2_b32 v[2:3], v8 offset1:1
	ds_read2_b32 v[4:5], v9 offset1:1
	v_add_u32_e32 v8, 0x800, v6
	;; [unrolled: 9-line block ×4, first 2 shown]
	s_waitcnt lgkmcnt(1)
	v_add_u32_e32 v0, v3, v2
	s_waitcnt lgkmcnt(0)
	v_add3_u32 v0, v0, v4, v5
	global_atomic_add_x2 v7, v[0:1], s[26:27] offset:1280
	v_add_u32_e32 v0, 0xc08, v6
	ds_read2_b32 v[2:3], v8 offset1:1
	ds_read2_b32 v[4:5], v0 offset1:1
	s_waitcnt lgkmcnt(1)
	v_add_u32_e32 v0, v3, v2
	s_waitcnt lgkmcnt(0)
	v_add3_u32 v0, v0, v4, v5
	global_atomic_add_x2 v7, v[0:1], s[26:27] offset:1536
.LBB23_137:
	s_endpgm
	.section	.rodata,"a",@progbits
	.p2align	6, 0x0
	.amdhsa_kernel _ZN7rocprim17ROCPRIM_304000_NS6detail26onesweep_histograms_kernelINS1_34wrapped_radix_sort_onesweep_configINS0_14default_configEiN2at4cuda3cub6detail10OpaqueTypeILi4EEEEELb0EPKimNS0_19identity_decomposerEEEvT1_PT2_SG_SG_T3_jj
		.amdhsa_group_segment_fixed_size 3584
		.amdhsa_private_segment_fixed_size 0
		.amdhsa_kernarg_size 44
		.amdhsa_user_sgpr_count 2
		.amdhsa_user_sgpr_dispatch_ptr 0
		.amdhsa_user_sgpr_queue_ptr 0
		.amdhsa_user_sgpr_kernarg_segment_ptr 1
		.amdhsa_user_sgpr_dispatch_id 0
		.amdhsa_user_sgpr_kernarg_preload_length 0
		.amdhsa_user_sgpr_kernarg_preload_offset 0
		.amdhsa_user_sgpr_private_segment_size 0
		.amdhsa_uses_dynamic_stack 0
		.amdhsa_enable_private_segment 0
		.amdhsa_system_sgpr_workgroup_id_x 1
		.amdhsa_system_sgpr_workgroup_id_y 0
		.amdhsa_system_sgpr_workgroup_id_z 0
		.amdhsa_system_sgpr_workgroup_info 0
		.amdhsa_system_vgpr_workitem_id 0
		.amdhsa_next_free_vgpr 24
		.amdhsa_next_free_sgpr 42
		.amdhsa_accum_offset 24
		.amdhsa_reserve_vcc 1
		.amdhsa_float_round_mode_32 0
		.amdhsa_float_round_mode_16_64 0
		.amdhsa_float_denorm_mode_32 3
		.amdhsa_float_denorm_mode_16_64 3
		.amdhsa_dx10_clamp 1
		.amdhsa_ieee_mode 1
		.amdhsa_fp16_overflow 0
		.amdhsa_tg_split 0
		.amdhsa_exception_fp_ieee_invalid_op 0
		.amdhsa_exception_fp_denorm_src 0
		.amdhsa_exception_fp_ieee_div_zero 0
		.amdhsa_exception_fp_ieee_overflow 0
		.amdhsa_exception_fp_ieee_underflow 0
		.amdhsa_exception_fp_ieee_inexact 0
		.amdhsa_exception_int_div_zero 0
	.end_amdhsa_kernel
	.section	.text._ZN7rocprim17ROCPRIM_304000_NS6detail26onesweep_histograms_kernelINS1_34wrapped_radix_sort_onesweep_configINS0_14default_configEiN2at4cuda3cub6detail10OpaqueTypeILi4EEEEELb0EPKimNS0_19identity_decomposerEEEvT1_PT2_SG_SG_T3_jj,"axG",@progbits,_ZN7rocprim17ROCPRIM_304000_NS6detail26onesweep_histograms_kernelINS1_34wrapped_radix_sort_onesweep_configINS0_14default_configEiN2at4cuda3cub6detail10OpaqueTypeILi4EEEEELb0EPKimNS0_19identity_decomposerEEEvT1_PT2_SG_SG_T3_jj,comdat
.Lfunc_end23:
	.size	_ZN7rocprim17ROCPRIM_304000_NS6detail26onesweep_histograms_kernelINS1_34wrapped_radix_sort_onesweep_configINS0_14default_configEiN2at4cuda3cub6detail10OpaqueTypeILi4EEEEELb0EPKimNS0_19identity_decomposerEEEvT1_PT2_SG_SG_T3_jj, .Lfunc_end23-_ZN7rocprim17ROCPRIM_304000_NS6detail26onesweep_histograms_kernelINS1_34wrapped_radix_sort_onesweep_configINS0_14default_configEiN2at4cuda3cub6detail10OpaqueTypeILi4EEEEELb0EPKimNS0_19identity_decomposerEEEvT1_PT2_SG_SG_T3_jj
                                        ; -- End function
	.set _ZN7rocprim17ROCPRIM_304000_NS6detail26onesweep_histograms_kernelINS1_34wrapped_radix_sort_onesweep_configINS0_14default_configEiN2at4cuda3cub6detail10OpaqueTypeILi4EEEEELb0EPKimNS0_19identity_decomposerEEEvT1_PT2_SG_SG_T3_jj.num_vgpr, 24
	.set _ZN7rocprim17ROCPRIM_304000_NS6detail26onesweep_histograms_kernelINS1_34wrapped_radix_sort_onesweep_configINS0_14default_configEiN2at4cuda3cub6detail10OpaqueTypeILi4EEEEELb0EPKimNS0_19identity_decomposerEEEvT1_PT2_SG_SG_T3_jj.num_agpr, 0
	.set _ZN7rocprim17ROCPRIM_304000_NS6detail26onesweep_histograms_kernelINS1_34wrapped_radix_sort_onesweep_configINS0_14default_configEiN2at4cuda3cub6detail10OpaqueTypeILi4EEEEELb0EPKimNS0_19identity_decomposerEEEvT1_PT2_SG_SG_T3_jj.numbered_sgpr, 42
	.set _ZN7rocprim17ROCPRIM_304000_NS6detail26onesweep_histograms_kernelINS1_34wrapped_radix_sort_onesweep_configINS0_14default_configEiN2at4cuda3cub6detail10OpaqueTypeILi4EEEEELb0EPKimNS0_19identity_decomposerEEEvT1_PT2_SG_SG_T3_jj.num_named_barrier, 0
	.set _ZN7rocprim17ROCPRIM_304000_NS6detail26onesweep_histograms_kernelINS1_34wrapped_radix_sort_onesweep_configINS0_14default_configEiN2at4cuda3cub6detail10OpaqueTypeILi4EEEEELb0EPKimNS0_19identity_decomposerEEEvT1_PT2_SG_SG_T3_jj.private_seg_size, 0
	.set _ZN7rocprim17ROCPRIM_304000_NS6detail26onesweep_histograms_kernelINS1_34wrapped_radix_sort_onesweep_configINS0_14default_configEiN2at4cuda3cub6detail10OpaqueTypeILi4EEEEELb0EPKimNS0_19identity_decomposerEEEvT1_PT2_SG_SG_T3_jj.uses_vcc, 1
	.set _ZN7rocprim17ROCPRIM_304000_NS6detail26onesweep_histograms_kernelINS1_34wrapped_radix_sort_onesweep_configINS0_14default_configEiN2at4cuda3cub6detail10OpaqueTypeILi4EEEEELb0EPKimNS0_19identity_decomposerEEEvT1_PT2_SG_SG_T3_jj.uses_flat_scratch, 0
	.set _ZN7rocprim17ROCPRIM_304000_NS6detail26onesweep_histograms_kernelINS1_34wrapped_radix_sort_onesweep_configINS0_14default_configEiN2at4cuda3cub6detail10OpaqueTypeILi4EEEEELb0EPKimNS0_19identity_decomposerEEEvT1_PT2_SG_SG_T3_jj.has_dyn_sized_stack, 0
	.set _ZN7rocprim17ROCPRIM_304000_NS6detail26onesweep_histograms_kernelINS1_34wrapped_radix_sort_onesweep_configINS0_14default_configEiN2at4cuda3cub6detail10OpaqueTypeILi4EEEEELb0EPKimNS0_19identity_decomposerEEEvT1_PT2_SG_SG_T3_jj.has_recursion, 0
	.set _ZN7rocprim17ROCPRIM_304000_NS6detail26onesweep_histograms_kernelINS1_34wrapped_radix_sort_onesweep_configINS0_14default_configEiN2at4cuda3cub6detail10OpaqueTypeILi4EEEEELb0EPKimNS0_19identity_decomposerEEEvT1_PT2_SG_SG_T3_jj.has_indirect_call, 0
	.section	.AMDGPU.csdata,"",@progbits
; Kernel info:
; codeLenInByte = 6192
; TotalNumSgprs: 48
; NumVgprs: 24
; NumAgprs: 0
; TotalNumVgprs: 24
; ScratchSize: 0
; MemoryBound: 0
; FloatMode: 240
; IeeeMode: 1
; LDSByteSize: 3584 bytes/workgroup (compile time only)
; SGPRBlocks: 5
; VGPRBlocks: 2
; NumSGPRsForWavesPerEU: 48
; NumVGPRsForWavesPerEU: 24
; AccumOffset: 24
; Occupancy: 8
; WaveLimiterHint : 1
; COMPUTE_PGM_RSRC2:SCRATCH_EN: 0
; COMPUTE_PGM_RSRC2:USER_SGPR: 2
; COMPUTE_PGM_RSRC2:TRAP_HANDLER: 0
; COMPUTE_PGM_RSRC2:TGID_X_EN: 1
; COMPUTE_PGM_RSRC2:TGID_Y_EN: 0
; COMPUTE_PGM_RSRC2:TGID_Z_EN: 0
; COMPUTE_PGM_RSRC2:TIDIG_COMP_CNT: 0
; COMPUTE_PGM_RSRC3_GFX90A:ACCUM_OFFSET: 5
; COMPUTE_PGM_RSRC3_GFX90A:TG_SPLIT: 0
	.section	.text._ZN7rocprim17ROCPRIM_304000_NS6detail25onesweep_iteration_kernelINS1_34wrapped_radix_sort_onesweep_configINS0_14default_configEiN2at4cuda3cub6detail10OpaqueTypeILi4EEEEELb0EPKiPiPKSA_PSA_mNS0_19identity_decomposerEEEvT1_T2_T3_T4_jPT5_SO_PNS1_23onesweep_lookback_stateET6_jjj,"axG",@progbits,_ZN7rocprim17ROCPRIM_304000_NS6detail25onesweep_iteration_kernelINS1_34wrapped_radix_sort_onesweep_configINS0_14default_configEiN2at4cuda3cub6detail10OpaqueTypeILi4EEEEELb0EPKiPiPKSA_PSA_mNS0_19identity_decomposerEEEvT1_T2_T3_T4_jPT5_SO_PNS1_23onesweep_lookback_stateET6_jjj,comdat
	.protected	_ZN7rocprim17ROCPRIM_304000_NS6detail25onesweep_iteration_kernelINS1_34wrapped_radix_sort_onesweep_configINS0_14default_configEiN2at4cuda3cub6detail10OpaqueTypeILi4EEEEELb0EPKiPiPKSA_PSA_mNS0_19identity_decomposerEEEvT1_T2_T3_T4_jPT5_SO_PNS1_23onesweep_lookback_stateET6_jjj ; -- Begin function _ZN7rocprim17ROCPRIM_304000_NS6detail25onesweep_iteration_kernelINS1_34wrapped_radix_sort_onesweep_configINS0_14default_configEiN2at4cuda3cub6detail10OpaqueTypeILi4EEEEELb0EPKiPiPKSA_PSA_mNS0_19identity_decomposerEEEvT1_T2_T3_T4_jPT5_SO_PNS1_23onesweep_lookback_stateET6_jjj
	.globl	_ZN7rocprim17ROCPRIM_304000_NS6detail25onesweep_iteration_kernelINS1_34wrapped_radix_sort_onesweep_configINS0_14default_configEiN2at4cuda3cub6detail10OpaqueTypeILi4EEEEELb0EPKiPiPKSA_PSA_mNS0_19identity_decomposerEEEvT1_T2_T3_T4_jPT5_SO_PNS1_23onesweep_lookback_stateET6_jjj
	.p2align	8
	.type	_ZN7rocprim17ROCPRIM_304000_NS6detail25onesweep_iteration_kernelINS1_34wrapped_radix_sort_onesweep_configINS0_14default_configEiN2at4cuda3cub6detail10OpaqueTypeILi4EEEEELb0EPKiPiPKSA_PSA_mNS0_19identity_decomposerEEEvT1_T2_T3_T4_jPT5_SO_PNS1_23onesweep_lookback_stateET6_jjj,@function
_ZN7rocprim17ROCPRIM_304000_NS6detail25onesweep_iteration_kernelINS1_34wrapped_radix_sort_onesweep_configINS0_14default_configEiN2at4cuda3cub6detail10OpaqueTypeILi4EEEEELb0EPKiPiPKSA_PSA_mNS0_19identity_decomposerEEEvT1_T2_T3_T4_jPT5_SO_PNS1_23onesweep_lookback_stateET6_jjj: ; @_ZN7rocprim17ROCPRIM_304000_NS6detail25onesweep_iteration_kernelINS1_34wrapped_radix_sort_onesweep_configINS0_14default_configEiN2at4cuda3cub6detail10OpaqueTypeILi4EEEEELb0EPKiPiPKSA_PSA_mNS0_19identity_decomposerEEEvT1_T2_T3_T4_jPT5_SO_PNS1_23onesweep_lookback_stateET6_jjj
; %bb.0:
	s_load_dwordx4 s[68:71], s[0:1], 0x44
	s_load_dwordx8 s[56:63], s[0:1], 0x0
	s_load_dwordx4 s[64:67], s[0:1], 0x28
	s_load_dwordx2 s[54:55], s[0:1], 0x38
	s_mov_b64 s[4:5], -1
	s_waitcnt lgkmcnt(0)
	s_cmp_ge_u32 s2, s70
	s_mul_i32 s72, s2, 0x1800
	v_mbcnt_lo_u32_b32 v1, -1, 0
	s_cbranch_scc0 .LBB24_168
; %bb.1:
	s_load_dword s3, s[0:1], 0x20
	s_mul_i32 s4, s70, 0xffffe800
	s_mov_b32 s73, 0
	s_lshl_b64 s[70:71], s[72:73], 2
	v_mbcnt_hi_u32_b32 v15, -1, v1
	s_waitcnt lgkmcnt(0)
	s_add_i32 s73, s4, s3
	s_add_u32 s4, s56, s70
	v_and_b32_e32 v24, 0x1c0, v0
	s_addc_u32 s5, s57, s71
	v_mul_u32_u24_e32 v8, 12, v24
	v_mov_b32_e32 v5, 0
	v_lshlrev_b32_e32 v4, 2, v15
	v_lshl_add_u64 v[2:3], s[4:5], 0, v[4:5]
	v_lshlrev_b32_e32 v6, 2, v8
	v_mov_b32_e32 v7, v5
	v_or_b32_e32 v10, v15, v8
	v_mov_b32_e32 v9, -1
	v_lshl_add_u64 v[2:3], v[2:3], 0, v[6:7]
	v_cmp_gt_u32_e32 vcc, s73, v10
	v_mov_b32_e32 v5, -1
	s_and_saveexec_b64 s[4:5], vcc
	s_cbranch_execz .LBB24_3
; %bb.2:
	global_load_dword v5, v[2:3], off
	s_waitcnt vmcnt(0)
	v_xor_b32_e32 v5, 0x80000000, v5
.LBB24_3:
	s_or_b64 exec, exec, s[4:5]
	v_add_u32_e32 v7, 64, v10
	v_cmp_gt_u32_e64 s[52:53], s73, v7
	s_and_saveexec_b64 s[4:5], s[52:53]
	s_cbranch_execz .LBB24_5
; %bb.4:
	global_load_dword v7, v[2:3], off offset:256
	s_waitcnt vmcnt(0)
	v_xor_b32_e32 v9, 0x80000000, v7
.LBB24_5:
	s_or_b64 exec, exec, s[4:5]
	v_add_u32_e32 v7, 0x80, v10
	v_cmp_gt_u32_e64 s[4:5], s73, v7
	v_mov_b32_e32 v7, -1
	v_mov_b32_e32 v14, -1
	s_and_saveexec_b64 s[6:7], s[4:5]
	s_cbranch_execz .LBB24_7
; %bb.6:
	global_load_dword v8, v[2:3], off offset:512
	s_waitcnt vmcnt(0)
	v_xor_b32_e32 v14, 0x80000000, v8
.LBB24_7:
	s_or_b64 exec, exec, s[6:7]
	v_add_u32_e32 v8, 0xc0, v10
	v_cmp_gt_u32_e64 s[6:7], s73, v8
	s_and_saveexec_b64 s[8:9], s[6:7]
	s_cbranch_execz .LBB24_9
; %bb.8:
	global_load_dword v7, v[2:3], off offset:768
	s_waitcnt vmcnt(0)
	v_xor_b32_e32 v7, 0x80000000, v7
.LBB24_9:
	s_or_b64 exec, exec, s[8:9]
	v_add_u32_e32 v8, 0x100, v10
	v_cmp_gt_u32_e64 s[8:9], s73, v8
	v_mov_b32_e32 v16, -1
	v_mov_b32_e32 v17, -1
	s_and_saveexec_b64 s[10:11], s[8:9]
	s_cbranch_execz .LBB24_11
; %bb.10:
	global_load_dword v8, v[2:3], off offset:1024
	s_waitcnt vmcnt(0)
	v_xor_b32_e32 v17, 0x80000000, v8
.LBB24_11:
	;; [unrolled: 22-line block ×5, first 2 shown]
	s_or_b64 exec, exec, s[22:23]
	v_add_u32_e32 v10, 0x2c0, v10
	v_and_b32_e32 v8, 0x3ff, v0
	v_cmp_gt_u32_e64 s[22:23], s73, v10
	s_and_saveexec_b64 s[24:25], s[22:23]
	s_cbranch_execz .LBB24_25
; %bb.24:
	global_load_dword v2, v[2:3], off offset:2816
	s_waitcnt vmcnt(0)
	v_xor_b32_e32 v22, 0x80000000, v2
.LBB24_25:
	s_or_b64 exec, exec, s[24:25]
	s_load_dword s24, s[0:1], 0x5c
	s_load_dword s3, s[0:1], 0x50
	s_add_u32 s25, s0, 0x50
	s_addc_u32 s26, s1, 0
	v_mov_b32_e32 v11, 0
	s_waitcnt lgkmcnt(0)
	s_lshr_b32 s27, s24, 16
	s_cmp_lt_u32 s2, s3
	s_cselect_b32 s24, 12, 18
	s_add_u32 s24, s25, s24
	s_addc_u32 s25, s26, 0
	global_load_ushort v25, v11, s[24:25]
	v_bfe_u32 v3, v0, 10, 10
	v_bfe_u32 v10, v0, 20, 10
	v_lshrrev_b32_e32 v13, s68, v5
	s_lshl_b32 s24, -1, s69
	v_mad_u32_u24 v34, v10, s27, v3
	v_bitop3_b32 v3, v13, s24, v13 bitop3:0x30
	v_and_b32_e32 v10, 1, v3
	v_lshlrev_b32_e32 v13, 30, v3
	v_mov_b32_e32 v12, v11
	v_mov_b32_e32 v26, v11
	s_not_b32 s33, s24
	v_mul_lo_u32 v35, v3, 36
	v_lshlrev_b32_e32 v27, 29, v3
	v_lshlrev_b32_e32 v29, 28, v3
	;; [unrolled: 1-line block ×3, first 2 shown]
	v_lshl_add_u64 v[32:33], v[10:11], 0, -1
	v_cmp_ne_u32_e64 s[24:25], 0, v10
	v_not_b32_e32 v3, v13
	v_mov_b32_e32 v28, v11
	v_cmp_gt_i64_e64 s[26:27], 0, v[12:13]
	v_cmp_gt_i64_e64 s[28:29], 0, v[26:27]
	v_not_b32_e32 v10, v27
	v_xor_b32_e32 v27, s24, v32
	v_ashrrev_i32_e32 v3, 31, v3
	v_mov_b32_e32 v30, v11
	v_cmp_gt_i64_e64 s[30:31], 0, v[28:29]
	v_not_b32_e32 v12, v29
	v_not_b32_e32 v13, v31
	v_xor_b32_e32 v26, s25, v33
	v_ashrrev_i32_e32 v10, 31, v10
	v_and_b32_e32 v27, exec_lo, v27
	v_xor_b32_e32 v28, s27, v3
	v_xor_b32_e32 v3, s26, v3
	v_cmp_gt_i64_e64 s[34:35], 0, v[30:31]
	v_ashrrev_i32_e32 v12, 31, v12
	v_ashrrev_i32_e32 v13, 31, v13
	v_and_b32_e32 v26, exec_hi, v26
	v_xor_b32_e32 v29, s29, v10
	v_xor_b32_e32 v10, s28, v10
	v_and_b32_e32 v3, v27, v3
	v_xor_b32_e32 v30, s31, v12
	v_xor_b32_e32 v12, s30, v12
	v_xor_b32_e32 v31, s35, v13
	v_xor_b32_e32 v32, s34, v13
	v_and_b32_e32 v13, v26, v28
	v_and_b32_e32 v3, v3, v10
	;; [unrolled: 1-line block ×7, first 2 shown]
	v_mbcnt_lo_u32_b32 v3, v12, 0
	v_mbcnt_hi_u32_b32 v3, v13, v3
	v_cmp_ne_u64_e64 s[24:25], 0, v[12:13]
	v_cmp_eq_u32_e64 s[26:27], 0, v3
	v_lshlrev_b32_e32 v2, 2, v8
	s_and_b64 s[26:27], s[24:25], s[26:27]
	ds_write_b32 v2, v11 offset:32
	s_waitcnt lgkmcnt(0)
	s_barrier
	s_waitcnt vmcnt(0)
	; wave barrier
	v_mad_u64_u32 v[26:27], s[28:29], v34, v25, v[8:9]
	v_lshrrev_b32_e32 v34, 6, v26
	v_lshl_add_u32 v26, v34, 2, v35
	s_and_saveexec_b64 s[24:25], s[26:27]
; %bb.26:
	v_bcnt_u32_b32 v10, v12, 0
	v_bcnt_u32_b32 v10, v13, v10
	ds_write_b32 v26, v10 offset:32
; %bb.27:
	s_or_b64 exec, exec, s[24:25]
	v_lshrrev_b32_e32 v10, s68, v9
	v_and_b32_e32 v27, s33, v10
	v_mul_lo_u32 v10, v27, 36
	v_lshl_add_u32 v28, v34, 2, v10
	v_and_b32_e32 v10, 1, v27
	v_lshl_add_u64 v[12:13], v[10:11], 0, -1
	v_cmp_ne_u32_e64 s[24:25], 0, v10
	; wave barrier
	s_nop 1
	v_xor_b32_e32 v12, s24, v12
	v_xor_b32_e32 v10, s25, v13
	v_and_b32_e32 v29, exec_lo, v12
	v_lshlrev_b32_e32 v13, 30, v27
	v_mov_b32_e32 v12, v11
	v_cmp_gt_i64_e64 s[24:25], 0, v[12:13]
	v_not_b32_e32 v12, v13
	v_ashrrev_i32_e32 v12, 31, v12
	v_and_b32_e32 v10, exec_hi, v10
	v_xor_b32_e32 v13, s25, v12
	v_xor_b32_e32 v12, s24, v12
	v_and_b32_e32 v10, v10, v13
	v_and_b32_e32 v29, v29, v12
	v_lshlrev_b32_e32 v13, 29, v27
	v_mov_b32_e32 v12, v11
	v_cmp_gt_i64_e64 s[24:25], 0, v[12:13]
	v_not_b32_e32 v12, v13
	v_ashrrev_i32_e32 v12, 31, v12
	v_xor_b32_e32 v13, s25, v12
	v_xor_b32_e32 v12, s24, v12
	v_and_b32_e32 v10, v10, v13
	v_and_b32_e32 v29, v29, v12
	v_lshlrev_b32_e32 v13, 28, v27
	v_mov_b32_e32 v12, v11
	v_cmp_gt_i64_e64 s[24:25], 0, v[12:13]
	v_not_b32_e32 v12, v13
	v_ashrrev_i32_e32 v12, 31, v12
	v_xor_b32_e32 v13, s25, v12
	v_xor_b32_e32 v12, s24, v12
	v_and_b32_e32 v10, v10, v13
	v_lshlrev_b32_e32 v13, 27, v27
	v_and_b32_e32 v29, v29, v12
	v_mov_b32_e32 v12, v11
	v_not_b32_e32 v11, v13
	v_cmp_gt_i64_e64 s[24:25], 0, v[12:13]
	v_ashrrev_i32_e32 v11, 31, v11
	ds_read_b32 v25, v28 offset:32
	v_xor_b32_e32 v12, s25, v11
	v_xor_b32_e32 v13, s24, v11
	v_and_b32_e32 v11, v10, v12
	v_and_b32_e32 v10, v29, v13
	v_mbcnt_lo_u32_b32 v12, v10, 0
	v_mbcnt_hi_u32_b32 v27, v11, v12
	v_cmp_eq_u32_e64 s[24:25], 0, v27
	v_cmp_ne_u64_e64 s[26:27], 0, v[10:11]
	s_and_b64 s[26:27], s[26:27], s[24:25]
	; wave barrier
	s_and_saveexec_b64 s[24:25], s[26:27]
	s_cbranch_execz .LBB24_29
; %bb.28:
	v_bcnt_u32_b32 v10, v10, 0
	v_bcnt_u32_b32 v10, v11, v10
	s_waitcnt lgkmcnt(0)
	v_add_u32_e32 v10, v25, v10
	ds_write_b32 v28, v10 offset:32
.LBB24_29:
	s_or_b64 exec, exec, s[24:25]
	v_lshrrev_b32_e32 v10, s68, v14
	v_and_b32_e32 v30, s33, v10
	v_mul_lo_u32 v10, v30, 36
	v_lshl_add_u32 v31, v34, 2, v10
	v_and_b32_e32 v10, 1, v30
	v_mov_b32_e32 v11, 0
	v_lshl_add_u64 v[12:13], v[10:11], 0, -1
	v_cmp_ne_u32_e64 s[24:25], 0, v10
	; wave barrier
	s_nop 1
	v_xor_b32_e32 v12, s24, v12
	v_xor_b32_e32 v10, s25, v13
	v_and_b32_e32 v32, exec_lo, v12
	v_lshlrev_b32_e32 v13, 30, v30
	v_mov_b32_e32 v12, v11
	v_cmp_gt_i64_e64 s[24:25], 0, v[12:13]
	v_not_b32_e32 v12, v13
	v_ashrrev_i32_e32 v12, 31, v12
	v_and_b32_e32 v10, exec_hi, v10
	v_xor_b32_e32 v13, s25, v12
	v_xor_b32_e32 v12, s24, v12
	v_and_b32_e32 v10, v10, v13
	v_and_b32_e32 v32, v32, v12
	v_lshlrev_b32_e32 v13, 29, v30
	v_mov_b32_e32 v12, v11
	v_cmp_gt_i64_e64 s[24:25], 0, v[12:13]
	v_not_b32_e32 v12, v13
	v_ashrrev_i32_e32 v12, 31, v12
	v_xor_b32_e32 v13, s25, v12
	v_xor_b32_e32 v12, s24, v12
	v_and_b32_e32 v10, v10, v13
	v_and_b32_e32 v32, v32, v12
	v_lshlrev_b32_e32 v13, 28, v30
	v_mov_b32_e32 v12, v11
	v_cmp_gt_i64_e64 s[24:25], 0, v[12:13]
	v_not_b32_e32 v12, v13
	v_ashrrev_i32_e32 v12, 31, v12
	;; [unrolled: 9-line block ×3, first 2 shown]
	v_xor_b32_e32 v13, s25, v12
	v_xor_b32_e32 v12, s24, v12
	ds_read_b32 v29, v31 offset:32
	v_and_b32_e32 v12, v32, v12
	v_and_b32_e32 v13, v10, v13
	v_mbcnt_lo_u32_b32 v10, v12, 0
	v_mbcnt_hi_u32_b32 v30, v13, v10
	v_cmp_eq_u32_e64 s[24:25], 0, v30
	v_cmp_ne_u64_e64 s[26:27], 0, v[12:13]
	s_and_b64 s[26:27], s[26:27], s[24:25]
	; wave barrier
	s_and_saveexec_b64 s[24:25], s[26:27]
	s_cbranch_execz .LBB24_31
; %bb.30:
	v_bcnt_u32_b32 v10, v12, 0
	v_bcnt_u32_b32 v10, v13, v10
	s_waitcnt lgkmcnt(0)
	v_add_u32_e32 v10, v29, v10
	ds_write_b32 v31, v10 offset:32
.LBB24_31:
	s_or_b64 exec, exec, s[24:25]
	v_lshrrev_b32_e32 v10, s68, v7
	v_and_b32_e32 v33, s33, v10
	v_mul_lo_u32 v10, v33, 36
	v_lshl_add_u32 v35, v34, 2, v10
	v_and_b32_e32 v10, 1, v33
	v_lshl_add_u64 v[12:13], v[10:11], 0, -1
	v_cmp_ne_u32_e64 s[24:25], 0, v10
	; wave barrier
	s_nop 1
	v_xor_b32_e32 v12, s24, v12
	v_xor_b32_e32 v10, s25, v13
	v_and_b32_e32 v36, exec_lo, v12
	v_lshlrev_b32_e32 v13, 30, v33
	v_mov_b32_e32 v12, v11
	v_cmp_gt_i64_e64 s[24:25], 0, v[12:13]
	v_not_b32_e32 v12, v13
	v_ashrrev_i32_e32 v12, 31, v12
	v_and_b32_e32 v10, exec_hi, v10
	v_xor_b32_e32 v13, s25, v12
	v_xor_b32_e32 v12, s24, v12
	v_and_b32_e32 v10, v10, v13
	v_and_b32_e32 v36, v36, v12
	v_lshlrev_b32_e32 v13, 29, v33
	v_mov_b32_e32 v12, v11
	v_cmp_gt_i64_e64 s[24:25], 0, v[12:13]
	v_not_b32_e32 v12, v13
	v_ashrrev_i32_e32 v12, 31, v12
	v_xor_b32_e32 v13, s25, v12
	v_xor_b32_e32 v12, s24, v12
	v_and_b32_e32 v10, v10, v13
	v_and_b32_e32 v36, v36, v12
	v_lshlrev_b32_e32 v13, 28, v33
	v_mov_b32_e32 v12, v11
	v_cmp_gt_i64_e64 s[24:25], 0, v[12:13]
	v_not_b32_e32 v12, v13
	v_ashrrev_i32_e32 v12, 31, v12
	v_xor_b32_e32 v13, s25, v12
	v_xor_b32_e32 v12, s24, v12
	v_and_b32_e32 v10, v10, v13
	v_lshlrev_b32_e32 v13, 27, v33
	v_and_b32_e32 v36, v36, v12
	v_mov_b32_e32 v12, v11
	v_not_b32_e32 v11, v13
	v_cmp_gt_i64_e64 s[24:25], 0, v[12:13]
	v_ashrrev_i32_e32 v11, 31, v11
	ds_read_b32 v32, v35 offset:32
	v_xor_b32_e32 v12, s25, v11
	v_xor_b32_e32 v13, s24, v11
	v_and_b32_e32 v11, v10, v12
	v_and_b32_e32 v10, v36, v13
	v_mbcnt_lo_u32_b32 v12, v10, 0
	v_mbcnt_hi_u32_b32 v33, v11, v12
	v_cmp_eq_u32_e64 s[24:25], 0, v33
	v_cmp_ne_u64_e64 s[26:27], 0, v[10:11]
	s_and_b64 s[26:27], s[26:27], s[24:25]
	; wave barrier
	s_and_saveexec_b64 s[24:25], s[26:27]
	s_cbranch_execz .LBB24_33
; %bb.32:
	v_bcnt_u32_b32 v10, v10, 0
	v_bcnt_u32_b32 v10, v11, v10
	s_waitcnt lgkmcnt(0)
	v_add_u32_e32 v10, v32, v10
	ds_write_b32 v35, v10 offset:32
.LBB24_33:
	s_or_b64 exec, exec, s[24:25]
	v_lshrrev_b32_e32 v10, s68, v17
	v_and_b32_e32 v37, s33, v10
	v_mul_lo_u32 v10, v37, 36
	v_lshl_add_u32 v39, v34, 2, v10
	v_and_b32_e32 v10, 1, v37
	v_mov_b32_e32 v11, 0
	v_lshl_add_u64 v[12:13], v[10:11], 0, -1
	v_cmp_ne_u32_e64 s[24:25], 0, v10
	; wave barrier
	s_nop 1
	v_xor_b32_e32 v12, s24, v12
	v_xor_b32_e32 v10, s25, v13
	v_and_b32_e32 v38, exec_lo, v12
	v_lshlrev_b32_e32 v13, 30, v37
	v_mov_b32_e32 v12, v11
	v_cmp_gt_i64_e64 s[24:25], 0, v[12:13]
	v_not_b32_e32 v12, v13
	v_ashrrev_i32_e32 v12, 31, v12
	v_and_b32_e32 v10, exec_hi, v10
	v_xor_b32_e32 v13, s25, v12
	v_xor_b32_e32 v12, s24, v12
	v_and_b32_e32 v10, v10, v13
	v_and_b32_e32 v38, v38, v12
	v_lshlrev_b32_e32 v13, 29, v37
	v_mov_b32_e32 v12, v11
	v_cmp_gt_i64_e64 s[24:25], 0, v[12:13]
	v_not_b32_e32 v12, v13
	v_ashrrev_i32_e32 v12, 31, v12
	v_xor_b32_e32 v13, s25, v12
	v_xor_b32_e32 v12, s24, v12
	v_and_b32_e32 v10, v10, v13
	v_and_b32_e32 v38, v38, v12
	v_lshlrev_b32_e32 v13, 28, v37
	v_mov_b32_e32 v12, v11
	v_cmp_gt_i64_e64 s[24:25], 0, v[12:13]
	v_not_b32_e32 v12, v13
	v_ashrrev_i32_e32 v12, 31, v12
	v_xor_b32_e32 v13, s25, v12
	v_xor_b32_e32 v12, s24, v12
	v_and_b32_e32 v10, v10, v13
	v_and_b32_e32 v38, v38, v12
	v_lshlrev_b32_e32 v13, 27, v37
	v_mov_b32_e32 v12, v11
	v_cmp_gt_i64_e64 s[24:25], 0, v[12:13]
	v_not_b32_e32 v12, v13
	v_ashrrev_i32_e32 v12, 31, v12
	v_xor_b32_e32 v13, s25, v12
	v_xor_b32_e32 v12, s24, v12
	ds_read_b32 v36, v39 offset:32
	v_and_b32_e32 v12, v38, v12
	v_and_b32_e32 v13, v10, v13
	v_mbcnt_lo_u32_b32 v10, v12, 0
	v_mbcnt_hi_u32_b32 v37, v13, v10
	v_cmp_eq_u32_e64 s[24:25], 0, v37
	v_cmp_ne_u64_e64 s[26:27], 0, v[12:13]
	s_and_b64 s[26:27], s[26:27], s[24:25]
	; wave barrier
	s_and_saveexec_b64 s[24:25], s[26:27]
	s_cbranch_execz .LBB24_35
; %bb.34:
	v_bcnt_u32_b32 v10, v12, 0
	v_bcnt_u32_b32 v10, v13, v10
	s_waitcnt lgkmcnt(0)
	v_add_u32_e32 v10, v36, v10
	ds_write_b32 v39, v10 offset:32
.LBB24_35:
	s_or_b64 exec, exec, s[24:25]
	v_lshrrev_b32_e32 v10, s68, v16
	v_and_b32_e32 v40, s33, v10
	v_mul_lo_u32 v10, v40, 36
	v_lshl_add_u32 v42, v34, 2, v10
	v_and_b32_e32 v10, 1, v40
	v_lshl_add_u64 v[12:13], v[10:11], 0, -1
	v_cmp_ne_u32_e64 s[24:25], 0, v10
	; wave barrier
	s_nop 1
	v_xor_b32_e32 v12, s24, v12
	v_xor_b32_e32 v10, s25, v13
	v_and_b32_e32 v41, exec_lo, v12
	v_lshlrev_b32_e32 v13, 30, v40
	v_mov_b32_e32 v12, v11
	v_cmp_gt_i64_e64 s[24:25], 0, v[12:13]
	v_not_b32_e32 v12, v13
	v_ashrrev_i32_e32 v12, 31, v12
	v_and_b32_e32 v10, exec_hi, v10
	v_xor_b32_e32 v13, s25, v12
	v_xor_b32_e32 v12, s24, v12
	v_and_b32_e32 v10, v10, v13
	v_and_b32_e32 v41, v41, v12
	v_lshlrev_b32_e32 v13, 29, v40
	v_mov_b32_e32 v12, v11
	v_cmp_gt_i64_e64 s[24:25], 0, v[12:13]
	v_not_b32_e32 v12, v13
	v_ashrrev_i32_e32 v12, 31, v12
	v_xor_b32_e32 v13, s25, v12
	v_xor_b32_e32 v12, s24, v12
	v_and_b32_e32 v10, v10, v13
	v_and_b32_e32 v41, v41, v12
	v_lshlrev_b32_e32 v13, 28, v40
	v_mov_b32_e32 v12, v11
	v_cmp_gt_i64_e64 s[24:25], 0, v[12:13]
	v_not_b32_e32 v12, v13
	v_ashrrev_i32_e32 v12, 31, v12
	v_xor_b32_e32 v13, s25, v12
	v_xor_b32_e32 v12, s24, v12
	v_and_b32_e32 v10, v10, v13
	v_lshlrev_b32_e32 v13, 27, v40
	v_and_b32_e32 v41, v41, v12
	v_mov_b32_e32 v12, v11
	v_not_b32_e32 v11, v13
	v_cmp_gt_i64_e64 s[24:25], 0, v[12:13]
	v_ashrrev_i32_e32 v11, 31, v11
	ds_read_b32 v38, v42 offset:32
	v_xor_b32_e32 v12, s25, v11
	v_xor_b32_e32 v13, s24, v11
	v_and_b32_e32 v11, v10, v12
	v_and_b32_e32 v10, v41, v13
	v_mbcnt_lo_u32_b32 v12, v10, 0
	v_mbcnt_hi_u32_b32 v40, v11, v12
	v_cmp_eq_u32_e64 s[24:25], 0, v40
	v_cmp_ne_u64_e64 s[26:27], 0, v[10:11]
	s_and_b64 s[26:27], s[26:27], s[24:25]
	; wave barrier
	s_and_saveexec_b64 s[24:25], s[26:27]
	s_cbranch_execz .LBB24_37
; %bb.36:
	v_bcnt_u32_b32 v10, v10, 0
	v_bcnt_u32_b32 v10, v11, v10
	s_waitcnt lgkmcnt(0)
	v_add_u32_e32 v10, v38, v10
	ds_write_b32 v42, v10 offset:32
.LBB24_37:
	s_or_b64 exec, exec, s[24:25]
	v_lshrrev_b32_e32 v10, s68, v19
	v_and_b32_e32 v43, s33, v10
	v_mul_lo_u32 v10, v43, 36
	v_lshl_add_u32 v45, v34, 2, v10
	v_and_b32_e32 v10, 1, v43
	v_mov_b32_e32 v11, 0
	v_lshl_add_u64 v[12:13], v[10:11], 0, -1
	v_cmp_ne_u32_e64 s[24:25], 0, v10
	; wave barrier
	s_nop 1
	v_xor_b32_e32 v12, s24, v12
	v_xor_b32_e32 v10, s25, v13
	v_and_b32_e32 v44, exec_lo, v12
	v_lshlrev_b32_e32 v13, 30, v43
	v_mov_b32_e32 v12, v11
	v_cmp_gt_i64_e64 s[24:25], 0, v[12:13]
	v_not_b32_e32 v12, v13
	v_ashrrev_i32_e32 v12, 31, v12
	v_and_b32_e32 v10, exec_hi, v10
	v_xor_b32_e32 v13, s25, v12
	v_xor_b32_e32 v12, s24, v12
	v_and_b32_e32 v10, v10, v13
	v_and_b32_e32 v44, v44, v12
	v_lshlrev_b32_e32 v13, 29, v43
	v_mov_b32_e32 v12, v11
	v_cmp_gt_i64_e64 s[24:25], 0, v[12:13]
	v_not_b32_e32 v12, v13
	v_ashrrev_i32_e32 v12, 31, v12
	v_xor_b32_e32 v13, s25, v12
	v_xor_b32_e32 v12, s24, v12
	v_and_b32_e32 v10, v10, v13
	v_and_b32_e32 v44, v44, v12
	v_lshlrev_b32_e32 v13, 28, v43
	v_mov_b32_e32 v12, v11
	v_cmp_gt_i64_e64 s[24:25], 0, v[12:13]
	v_not_b32_e32 v12, v13
	v_ashrrev_i32_e32 v12, 31, v12
	;; [unrolled: 9-line block ×3, first 2 shown]
	v_xor_b32_e32 v13, s25, v12
	v_xor_b32_e32 v12, s24, v12
	ds_read_b32 v41, v45 offset:32
	v_and_b32_e32 v12, v44, v12
	v_and_b32_e32 v13, v10, v13
	v_mbcnt_lo_u32_b32 v10, v12, 0
	v_mbcnt_hi_u32_b32 v43, v13, v10
	v_cmp_eq_u32_e64 s[24:25], 0, v43
	v_cmp_ne_u64_e64 s[26:27], 0, v[12:13]
	s_and_b64 s[26:27], s[26:27], s[24:25]
	; wave barrier
	s_and_saveexec_b64 s[24:25], s[26:27]
	s_cbranch_execz .LBB24_39
; %bb.38:
	v_bcnt_u32_b32 v10, v12, 0
	v_bcnt_u32_b32 v10, v13, v10
	s_waitcnt lgkmcnt(0)
	v_add_u32_e32 v10, v41, v10
	ds_write_b32 v45, v10 offset:32
.LBB24_39:
	s_or_b64 exec, exec, s[24:25]
	v_lshrrev_b32_e32 v10, s68, v18
	v_and_b32_e32 v46, s33, v10
	v_mul_lo_u32 v10, v46, 36
	v_lshl_add_u32 v48, v34, 2, v10
	v_and_b32_e32 v10, 1, v46
	v_lshl_add_u64 v[12:13], v[10:11], 0, -1
	v_cmp_ne_u32_e64 s[24:25], 0, v10
	; wave barrier
	s_nop 1
	v_xor_b32_e32 v12, s24, v12
	v_xor_b32_e32 v10, s25, v13
	v_and_b32_e32 v47, exec_lo, v12
	v_lshlrev_b32_e32 v13, 30, v46
	v_mov_b32_e32 v12, v11
	v_cmp_gt_i64_e64 s[24:25], 0, v[12:13]
	v_not_b32_e32 v12, v13
	v_ashrrev_i32_e32 v12, 31, v12
	v_and_b32_e32 v10, exec_hi, v10
	v_xor_b32_e32 v13, s25, v12
	v_xor_b32_e32 v12, s24, v12
	v_and_b32_e32 v10, v10, v13
	v_and_b32_e32 v47, v47, v12
	v_lshlrev_b32_e32 v13, 29, v46
	v_mov_b32_e32 v12, v11
	v_cmp_gt_i64_e64 s[24:25], 0, v[12:13]
	v_not_b32_e32 v12, v13
	v_ashrrev_i32_e32 v12, 31, v12
	v_xor_b32_e32 v13, s25, v12
	v_xor_b32_e32 v12, s24, v12
	v_and_b32_e32 v10, v10, v13
	v_and_b32_e32 v47, v47, v12
	v_lshlrev_b32_e32 v13, 28, v46
	v_mov_b32_e32 v12, v11
	v_cmp_gt_i64_e64 s[24:25], 0, v[12:13]
	v_not_b32_e32 v12, v13
	v_ashrrev_i32_e32 v12, 31, v12
	v_xor_b32_e32 v13, s25, v12
	v_xor_b32_e32 v12, s24, v12
	v_and_b32_e32 v10, v10, v13
	v_lshlrev_b32_e32 v13, 27, v46
	v_and_b32_e32 v47, v47, v12
	v_mov_b32_e32 v12, v11
	v_not_b32_e32 v11, v13
	v_cmp_gt_i64_e64 s[24:25], 0, v[12:13]
	v_ashrrev_i32_e32 v11, 31, v11
	ds_read_b32 v44, v48 offset:32
	v_xor_b32_e32 v12, s25, v11
	v_xor_b32_e32 v13, s24, v11
	v_and_b32_e32 v11, v10, v12
	v_and_b32_e32 v10, v47, v13
	v_mbcnt_lo_u32_b32 v12, v10, 0
	v_mbcnt_hi_u32_b32 v46, v11, v12
	v_cmp_eq_u32_e64 s[24:25], 0, v46
	v_cmp_ne_u64_e64 s[26:27], 0, v[10:11]
	s_and_b64 s[26:27], s[26:27], s[24:25]
	; wave barrier
	s_and_saveexec_b64 s[24:25], s[26:27]
	s_cbranch_execz .LBB24_41
; %bb.40:
	v_bcnt_u32_b32 v10, v10, 0
	v_bcnt_u32_b32 v10, v11, v10
	s_waitcnt lgkmcnt(0)
	v_add_u32_e32 v10, v44, v10
	ds_write_b32 v48, v10 offset:32
.LBB24_41:
	s_or_b64 exec, exec, s[24:25]
	v_lshrrev_b32_e32 v10, s68, v21
	v_and_b32_e32 v49, s33, v10
	v_mul_lo_u32 v10, v49, 36
	v_lshl_add_u32 v51, v34, 2, v10
	v_and_b32_e32 v10, 1, v49
	v_mov_b32_e32 v11, 0
	v_lshl_add_u64 v[12:13], v[10:11], 0, -1
	v_cmp_ne_u32_e64 s[24:25], 0, v10
	; wave barrier
	s_nop 1
	v_xor_b32_e32 v12, s24, v12
	v_xor_b32_e32 v10, s25, v13
	v_and_b32_e32 v50, exec_lo, v12
	v_lshlrev_b32_e32 v13, 30, v49
	v_mov_b32_e32 v12, v11
	v_cmp_gt_i64_e64 s[24:25], 0, v[12:13]
	v_not_b32_e32 v12, v13
	v_ashrrev_i32_e32 v12, 31, v12
	v_and_b32_e32 v10, exec_hi, v10
	v_xor_b32_e32 v13, s25, v12
	v_xor_b32_e32 v12, s24, v12
	v_and_b32_e32 v10, v10, v13
	v_and_b32_e32 v50, v50, v12
	v_lshlrev_b32_e32 v13, 29, v49
	v_mov_b32_e32 v12, v11
	v_cmp_gt_i64_e64 s[24:25], 0, v[12:13]
	v_not_b32_e32 v12, v13
	v_ashrrev_i32_e32 v12, 31, v12
	v_xor_b32_e32 v13, s25, v12
	v_xor_b32_e32 v12, s24, v12
	v_and_b32_e32 v10, v10, v13
	v_and_b32_e32 v50, v50, v12
	v_lshlrev_b32_e32 v13, 28, v49
	v_mov_b32_e32 v12, v11
	v_cmp_gt_i64_e64 s[24:25], 0, v[12:13]
	v_not_b32_e32 v12, v13
	v_ashrrev_i32_e32 v12, 31, v12
	;; [unrolled: 9-line block ×3, first 2 shown]
	v_xor_b32_e32 v13, s25, v12
	v_xor_b32_e32 v12, s24, v12
	ds_read_b32 v47, v51 offset:32
	v_and_b32_e32 v12, v50, v12
	v_and_b32_e32 v13, v10, v13
	v_mbcnt_lo_u32_b32 v10, v12, 0
	v_mbcnt_hi_u32_b32 v49, v13, v10
	v_cmp_eq_u32_e64 s[24:25], 0, v49
	v_cmp_ne_u64_e64 s[26:27], 0, v[12:13]
	s_and_b64 s[26:27], s[26:27], s[24:25]
	; wave barrier
	s_and_saveexec_b64 s[24:25], s[26:27]
	s_cbranch_execz .LBB24_43
; %bb.42:
	v_bcnt_u32_b32 v10, v12, 0
	v_bcnt_u32_b32 v10, v13, v10
	s_waitcnt lgkmcnt(0)
	v_add_u32_e32 v10, v47, v10
	ds_write_b32 v51, v10 offset:32
.LBB24_43:
	s_or_b64 exec, exec, s[24:25]
	v_lshrrev_b32_e32 v10, s68, v20
	v_and_b32_e32 v52, s33, v10
	v_mul_lo_u32 v10, v52, 36
	v_lshl_add_u32 v54, v34, 2, v10
	v_and_b32_e32 v10, 1, v52
	v_lshl_add_u64 v[12:13], v[10:11], 0, -1
	v_cmp_ne_u32_e64 s[24:25], 0, v10
	; wave barrier
	s_nop 1
	v_xor_b32_e32 v12, s24, v12
	v_xor_b32_e32 v10, s25, v13
	v_and_b32_e32 v53, exec_lo, v12
	v_lshlrev_b32_e32 v13, 30, v52
	v_mov_b32_e32 v12, v11
	v_cmp_gt_i64_e64 s[24:25], 0, v[12:13]
	v_not_b32_e32 v12, v13
	v_ashrrev_i32_e32 v12, 31, v12
	v_and_b32_e32 v10, exec_hi, v10
	v_xor_b32_e32 v13, s25, v12
	v_xor_b32_e32 v12, s24, v12
	v_and_b32_e32 v10, v10, v13
	v_and_b32_e32 v53, v53, v12
	v_lshlrev_b32_e32 v13, 29, v52
	v_mov_b32_e32 v12, v11
	v_cmp_gt_i64_e64 s[24:25], 0, v[12:13]
	v_not_b32_e32 v12, v13
	v_ashrrev_i32_e32 v12, 31, v12
	v_xor_b32_e32 v13, s25, v12
	v_xor_b32_e32 v12, s24, v12
	v_and_b32_e32 v10, v10, v13
	v_and_b32_e32 v53, v53, v12
	v_lshlrev_b32_e32 v13, 28, v52
	v_mov_b32_e32 v12, v11
	v_cmp_gt_i64_e64 s[24:25], 0, v[12:13]
	v_not_b32_e32 v12, v13
	v_ashrrev_i32_e32 v12, 31, v12
	v_xor_b32_e32 v13, s25, v12
	v_xor_b32_e32 v12, s24, v12
	v_and_b32_e32 v10, v10, v13
	v_lshlrev_b32_e32 v13, 27, v52
	v_and_b32_e32 v53, v53, v12
	v_mov_b32_e32 v12, v11
	v_not_b32_e32 v11, v13
	v_cmp_gt_i64_e64 s[24:25], 0, v[12:13]
	v_ashrrev_i32_e32 v11, 31, v11
	ds_read_b32 v50, v54 offset:32
	v_xor_b32_e32 v12, s25, v11
	v_xor_b32_e32 v13, s24, v11
	v_and_b32_e32 v11, v10, v12
	v_and_b32_e32 v10, v53, v13
	v_mbcnt_lo_u32_b32 v12, v10, 0
	v_mbcnt_hi_u32_b32 v52, v11, v12
	v_cmp_eq_u32_e64 s[24:25], 0, v52
	v_cmp_ne_u64_e64 s[26:27], 0, v[10:11]
	s_and_b64 s[26:27], s[26:27], s[24:25]
	; wave barrier
	s_and_saveexec_b64 s[24:25], s[26:27]
	s_cbranch_execz .LBB24_45
; %bb.44:
	v_bcnt_u32_b32 v10, v10, 0
	v_bcnt_u32_b32 v10, v11, v10
	s_waitcnt lgkmcnt(0)
	v_add_u32_e32 v10, v50, v10
	ds_write_b32 v54, v10 offset:32
.LBB24_45:
	s_or_b64 exec, exec, s[24:25]
	v_lshrrev_b32_e32 v10, s68, v23
	v_and_b32_e32 v55, s33, v10
	v_mul_lo_u32 v10, v55, 36
	v_lshl_add_u32 v57, v34, 2, v10
	v_and_b32_e32 v10, 1, v55
	v_mov_b32_e32 v11, 0
	v_lshl_add_u64 v[12:13], v[10:11], 0, -1
	v_cmp_ne_u32_e64 s[24:25], 0, v10
	; wave barrier
	s_nop 1
	v_xor_b32_e32 v12, s24, v12
	v_xor_b32_e32 v10, s25, v13
	v_and_b32_e32 v56, exec_lo, v12
	v_lshlrev_b32_e32 v13, 30, v55
	v_mov_b32_e32 v12, v11
	v_cmp_gt_i64_e64 s[24:25], 0, v[12:13]
	v_not_b32_e32 v12, v13
	v_ashrrev_i32_e32 v12, 31, v12
	v_and_b32_e32 v10, exec_hi, v10
	v_xor_b32_e32 v13, s25, v12
	v_xor_b32_e32 v12, s24, v12
	v_and_b32_e32 v10, v10, v13
	v_and_b32_e32 v56, v56, v12
	v_lshlrev_b32_e32 v13, 29, v55
	v_mov_b32_e32 v12, v11
	v_cmp_gt_i64_e64 s[24:25], 0, v[12:13]
	v_not_b32_e32 v12, v13
	v_ashrrev_i32_e32 v12, 31, v12
	v_xor_b32_e32 v13, s25, v12
	v_xor_b32_e32 v12, s24, v12
	v_and_b32_e32 v10, v10, v13
	v_and_b32_e32 v56, v56, v12
	v_lshlrev_b32_e32 v13, 28, v55
	v_mov_b32_e32 v12, v11
	v_cmp_gt_i64_e64 s[24:25], 0, v[12:13]
	v_not_b32_e32 v12, v13
	v_ashrrev_i32_e32 v12, 31, v12
	;; [unrolled: 9-line block ×3, first 2 shown]
	v_xor_b32_e32 v13, s25, v12
	v_xor_b32_e32 v12, s24, v12
	ds_read_b32 v53, v57 offset:32
	v_and_b32_e32 v12, v56, v12
	v_and_b32_e32 v13, v10, v13
	v_mbcnt_lo_u32_b32 v10, v12, 0
	v_mbcnt_hi_u32_b32 v55, v13, v10
	v_cmp_eq_u32_e64 s[24:25], 0, v55
	v_cmp_ne_u64_e64 s[26:27], 0, v[12:13]
	s_and_b64 s[26:27], s[26:27], s[24:25]
	; wave barrier
	s_and_saveexec_b64 s[24:25], s[26:27]
	s_cbranch_execz .LBB24_47
; %bb.46:
	v_bcnt_u32_b32 v10, v12, 0
	v_bcnt_u32_b32 v10, v13, v10
	s_waitcnt lgkmcnt(0)
	v_add_u32_e32 v10, v53, v10
	ds_write_b32 v57, v10 offset:32
.LBB24_47:
	s_or_b64 exec, exec, s[24:25]
	v_lshrrev_b32_e32 v10, s68, v22
	v_and_b32_e32 v13, s33, v10
	v_mul_lo_u32 v10, v13, 36
	v_lshl_add_u32 v12, v34, 2, v10
	v_and_b32_e32 v10, 1, v13
	v_lshl_add_u64 v[58:59], v[10:11], 0, -1
	v_cmp_ne_u32_e64 s[24:25], 0, v10
	; wave barrier
	s_nop 1
	v_xor_b32_e32 v10, s25, v59
	v_xor_b32_e32 v34, s24, v58
	v_lshlrev_b32_e32 v59, 30, v13
	v_mov_b32_e32 v58, v11
	v_cmp_gt_i64_e64 s[24:25], 0, v[58:59]
	v_not_b32_e32 v58, v59
	v_ashrrev_i32_e32 v58, 31, v58
	v_and_b32_e32 v10, exec_hi, v10
	v_and_b32_e32 v34, exec_lo, v34
	v_xor_b32_e32 v59, s25, v58
	v_xor_b32_e32 v58, s24, v58
	v_and_b32_e32 v10, v10, v59
	v_and_b32_e32 v34, v34, v58
	v_lshlrev_b32_e32 v59, 29, v13
	v_mov_b32_e32 v58, v11
	v_cmp_gt_i64_e64 s[24:25], 0, v[58:59]
	v_not_b32_e32 v58, v59
	v_ashrrev_i32_e32 v58, 31, v58
	v_xor_b32_e32 v59, s25, v58
	v_xor_b32_e32 v58, s24, v58
	v_and_b32_e32 v10, v10, v59
	v_and_b32_e32 v34, v34, v58
	v_lshlrev_b32_e32 v59, 28, v13
	v_mov_b32_e32 v58, v11
	v_cmp_gt_i64_e64 s[24:25], 0, v[58:59]
	v_not_b32_e32 v58, v59
	v_ashrrev_i32_e32 v58, 31, v58
	v_xor_b32_e32 v59, s25, v58
	v_xor_b32_e32 v58, s24, v58
	v_and_b32_e32 v10, v10, v59
	v_lshlrev_b32_e32 v59, 27, v13
	v_and_b32_e32 v34, v34, v58
	v_mov_b32_e32 v58, v11
	v_not_b32_e32 v11, v59
	v_cmp_gt_i64_e64 s[24:25], 0, v[58:59]
	v_ashrrev_i32_e32 v11, 31, v11
	ds_read_b32 v56, v12 offset:32
	v_xor_b32_e32 v13, s25, v11
	v_xor_b32_e32 v58, s24, v11
	v_and_b32_e32 v11, v10, v13
	v_and_b32_e32 v10, v34, v58
	v_mbcnt_lo_u32_b32 v13, v10, 0
	v_mbcnt_hi_u32_b32 v58, v11, v13
	v_cmp_eq_u32_e64 s[24:25], 0, v58
	v_cmp_ne_u64_e64 s[26:27], 0, v[10:11]
	s_and_b64 s[26:27], s[26:27], s[24:25]
	; wave barrier
	s_and_saveexec_b64 s[24:25], s[26:27]
	s_cbranch_execz .LBB24_49
; %bb.48:
	v_bcnt_u32_b32 v10, v10, 0
	v_bcnt_u32_b32 v10, v11, v10
	s_waitcnt lgkmcnt(0)
	v_add_u32_e32 v10, v56, v10
	ds_write_b32 v12, v10 offset:32
.LBB24_49:
	s_or_b64 exec, exec, s[24:25]
	; wave barrier
	s_waitcnt lgkmcnt(0)
	s_barrier
	ds_read_b32 v10, v2 offset:32
	v_and_b32_e32 v11, 15, v15
	v_cmp_ne_u32_e64 s[24:25], 0, v11
	s_waitcnt lgkmcnt(0)
	v_mov_b32_dpp v13, v10 row_shr:1 row_mask:0xf bank_mask:0xf
	v_cndmask_b32_e64 v13, 0, v13, s[24:25]
	v_add_u32_e32 v10, v13, v10
	v_cmp_lt_u32_e64 s[24:25], 1, v11
	s_nop 0
	v_mov_b32_dpp v13, v10 row_shr:2 row_mask:0xf bank_mask:0xf
	v_cndmask_b32_e64 v13, 0, v13, s[24:25]
	v_add_u32_e32 v10, v10, v13
	v_cmp_lt_u32_e64 s[24:25], 3, v11
	s_nop 0
	v_mov_b32_dpp v13, v10 row_shr:4 row_mask:0xf bank_mask:0xf
	v_cndmask_b32_e64 v13, 0, v13, s[24:25]
	v_add_u32_e32 v10, v10, v13
	v_cmp_lt_u32_e64 s[24:25], 7, v11
	s_nop 0
	v_mov_b32_dpp v13, v10 row_shr:8 row_mask:0xf bank_mask:0xf
	v_cndmask_b32_e64 v11, 0, v13, s[24:25]
	v_add_u32_e32 v10, v10, v11
	v_bfe_i32 v13, v15, 4, 1
	v_cmp_lt_u32_e64 s[24:25], 31, v15
	v_mov_b32_dpp v11, v10 row_bcast:15 row_mask:0xf bank_mask:0xf
	v_and_b32_e32 v11, v13, v11
	v_add_u32_e32 v10, v10, v11
	v_min_u32_e32 v13, 0x1c0, v24
	v_or_b32_e32 v13, 63, v13
	v_mov_b32_dpp v11, v10 row_bcast:31 row_mask:0xf bank_mask:0xf
	v_cndmask_b32_e64 v11, 0, v11, s[24:25]
	v_add_u32_e32 v10, v10, v11
	v_lshrrev_b32_e32 v11, 6, v8
	v_cmp_eq_u32_e64 s[24:25], v8, v13
	s_and_saveexec_b64 s[26:27], s[24:25]
; %bb.50:
	v_lshlrev_b32_e32 v13, 2, v11
	ds_write_b32 v13, v10
; %bb.51:
	s_or_b64 exec, exec, s[26:27]
	v_cmp_gt_u32_e64 s[24:25], 8, v8
	s_waitcnt lgkmcnt(0)
	s_barrier
	s_and_saveexec_b64 s[26:27], s[24:25]
	s_cbranch_execz .LBB24_53
; %bb.52:
	ds_read_b32 v13, v2
	v_and_b32_e32 v24, 7, v15
	v_cmp_ne_u32_e64 s[24:25], 0, v24
	s_waitcnt lgkmcnt(0)
	v_mov_b32_dpp v34, v13 row_shr:1 row_mask:0xf bank_mask:0xf
	v_cndmask_b32_e64 v34, 0, v34, s[24:25]
	v_add_u32_e32 v13, v34, v13
	v_cmp_lt_u32_e64 s[24:25], 1, v24
	s_nop 0
	v_mov_b32_dpp v34, v13 row_shr:2 row_mask:0xf bank_mask:0xf
	v_cndmask_b32_e64 v34, 0, v34, s[24:25]
	v_add_u32_e32 v13, v13, v34
	v_cmp_lt_u32_e64 s[24:25], 3, v24
	s_nop 0
	v_mov_b32_dpp v34, v13 row_shr:4 row_mask:0xf bank_mask:0xf
	v_cndmask_b32_e64 v24, 0, v34, s[24:25]
	v_add_u32_e32 v13, v13, v24
	ds_write_b32 v2, v13
.LBB24_53:
	s_or_b64 exec, exec, s[26:27]
	v_cmp_lt_u32_e64 s[24:25], 63, v8
	v_mov_b32_e32 v13, 0
	s_waitcnt lgkmcnt(0)
	s_barrier
	s_and_saveexec_b64 s[26:27], s[24:25]
; %bb.54:
	v_lshl_add_u32 v11, v11, 2, -4
	ds_read_b32 v13, v11
; %bb.55:
	s_or_b64 exec, exec, s[26:27]
	v_add_u32_e32 v11, -1, v15
	v_and_b32_e32 v24, 64, v15
	v_cmp_lt_i32_e64 s[24:25], v11, v24
	s_waitcnt lgkmcnt(0)
	v_add_u32_e32 v10, v13, v10
	v_cmp_gt_u32_e64 s[26:27], 32, v8
	v_cndmask_b32_e64 v11, v11, v15, s[24:25]
	v_lshlrev_b32_e32 v11, 2, v11
	ds_bpermute_b32 v10, v11, v10
	v_cmp_eq_u32_e64 s[24:25], 0, v15
	s_waitcnt lgkmcnt(0)
	s_nop 0
	v_cndmask_b32_e64 v10, v10, v13, s[24:25]
	ds_write_b32 v2, v10 offset:32
	s_waitcnt lgkmcnt(0)
	s_barrier
	ds_read_b32 v13, v26 offset:32
	ds_read_b32 v34, v28 offset:32
	;; [unrolled: 1-line block ×12, first 2 shown]
	v_cmp_lt_u32_e64 s[24:25], 31, v8
	v_mov_b64_e32 v[10:11], 0
                                        ; implicit-def: $vgpr12
	s_and_saveexec_b64 s[30:31], s[26:27]
	s_cbranch_execz .LBB24_59
; %bb.56:
	v_mul_u32_u24_e32 v10, 36, v8
	ds_read_b32 v10, v10 offset:32
	v_add_u32_e32 v12, 1, v8
	v_cmp_ne_u32_e64 s[28:29], 32, v12
	v_mov_b32_e32 v11, 0x1800
	s_and_saveexec_b64 s[34:35], s[28:29]
; %bb.57:
	v_mul_u32_u24_e32 v11, 36, v12
	ds_read_b32 v11, v11 offset:32
; %bb.58:
	s_or_b64 exec, exec, s[34:35]
	s_waitcnt lgkmcnt(0)
	v_sub_u32_e32 v12, v11, v10
	v_mov_b32_e32 v11, 0
.LBB24_59:
	s_or_b64 exec, exec, s[30:31]
	v_lshlrev_b32_e32 v3, 2, v3
	s_waitcnt lgkmcnt(11)
	v_lshl_add_u32 v13, v13, 2, v3
	s_waitcnt lgkmcnt(0)
	s_barrier
	ds_write_b32 v13, v5 offset:256
	v_lshlrev_b32_e32 v3, 2, v34
	v_lshlrev_b32_e32 v5, 2, v27
	;; [unrolled: 1-line block ×3, first 2 shown]
	v_add3_u32 v34, v3, v5, v25
	ds_write_b32 v34, v9 offset:256
	v_lshlrev_b32_e32 v3, 2, v62
	v_lshlrev_b32_e32 v5, 2, v30
	;; [unrolled: 1-line block ×3, first 2 shown]
	v_add3_u32 v35, v3, v5, v9
	v_lshlrev_b32_e32 v3, 2, v61
	v_lshlrev_b32_e32 v5, 2, v33
	;; [unrolled: 1-line block ×3, first 2 shown]
	v_add3_u32 v33, v3, v5, v9
	ds_write_b32 v35, v14 offset:256
	ds_write_b32 v33, v7 offset:256
	v_lshlrev_b32_e32 v3, 2, v60
	v_lshlrev_b32_e32 v5, 2, v37
	v_lshlrev_b32_e32 v7, 2, v36
	v_add3_u32 v36, v3, v5, v7
	v_lshlrev_b32_e32 v3, 2, v59
	v_lshlrev_b32_e32 v5, 2, v40
	v_lshlrev_b32_e32 v7, 2, v38
	v_add3_u32 v37, v3, v5, v7
	;; [unrolled: 4-line block ×7, first 2 shown]
	v_lshlrev_b32_e32 v3, 2, v24
	v_lshlrev_b32_e32 v5, 2, v58
	;; [unrolled: 1-line block ×3, first 2 shown]
	v_mov_b32_e32 v15, 0
	v_add3_u32 v43, v3, v5, v7
	v_lshlrev_b32_e32 v32, 3, v8
	ds_write_b32 v36, v17 offset:256
	ds_write_b32 v37, v16 offset:256
	;; [unrolled: 1-line block ×8, first 2 shown]
	s_waitcnt lgkmcnt(0)
	s_barrier
	s_and_saveexec_b64 s[28:29], s[26:27]
	s_cbranch_execz .LBB24_69
; %bb.60:
	v_lshl_add_u32 v14, s2, 5, v8
	v_lshl_add_u64 v[16:17], v[14:15], 2, s[54:55]
	v_or_b32_e32 v3, 2.0, v12
	global_store_dword v[16:17], v3, off sc1
	s_mov_b64 s[30:31], 0
	s_brev_b32 s38, -4
	s_mov_b32 s39, s2
	v_mov_b32_e32 v3, 0
                                        ; implicit-def: $sgpr26_sgpr27
	s_branch .LBB24_63
.LBB24_61:                              ;   in Loop: Header=BB24_63 Depth=1
	s_or_b64 exec, exec, s[36:37]
.LBB24_62:                              ;   in Loop: Header=BB24_63 Depth=1
	s_or_b64 exec, exec, s[34:35]
	v_and_b32_e32 v7, 0x3fffffff, v5
	v_add_u32_e32 v3, v7, v3
	v_cmp_gt_i32_e64 s[26:27], -2.0, v5
	s_and_b64 s[34:35], exec, s[26:27]
	s_or_b64 s[30:31], s[34:35], s[30:31]
	s_andn2_b64 exec, exec, s[30:31]
	s_cbranch_execz .LBB24_68
.LBB24_63:                              ; =>This Loop Header: Depth=1
                                        ;     Child Loop BB24_66 Depth 2
	s_or_b64 s[26:27], s[26:27], exec
	s_cmp_eq_u32 s39, 0
	s_cbranch_scc1 .LBB24_67
; %bb.64:                               ;   in Loop: Header=BB24_63 Depth=1
	s_add_i32 s39, s39, -1
	v_lshl_or_b32 v14, s39, 5, v8
	v_lshl_add_u64 v[18:19], v[14:15], 2, s[54:55]
	global_load_dword v5, v[18:19], off sc1
	s_waitcnt vmcnt(0)
	v_cmp_gt_u32_e64 s[26:27], 2.0, v5
	s_and_saveexec_b64 s[34:35], s[26:27]
	s_cbranch_execz .LBB24_62
; %bb.65:                               ;   in Loop: Header=BB24_63 Depth=1
	s_mov_b64 s[36:37], 0
.LBB24_66:                              ;   Parent Loop BB24_63 Depth=1
                                        ; =>  This Inner Loop Header: Depth=2
	global_load_dword v5, v[18:19], off sc1
	s_waitcnt vmcnt(0)
	v_cmp_lt_u32_e64 s[26:27], s38, v5
	s_or_b64 s[36:37], s[26:27], s[36:37]
	s_andn2_b64 exec, exec, s[36:37]
	s_cbranch_execnz .LBB24_66
	s_branch .LBB24_61
.LBB24_67:                              ;   in Loop: Header=BB24_63 Depth=1
                                        ; implicit-def: $sgpr39
	s_and_b64 s[34:35], exec, s[26:27]
	s_or_b64 s[30:31], s[34:35], s[30:31]
	s_andn2_b64 exec, exec, s[30:31]
	s_cbranch_execnz .LBB24_63
.LBB24_68:
	s_or_b64 exec, exec, s[30:31]
	v_add_u32_e32 v5, v3, v12
	v_or_b32_e32 v5, 0x80000000, v5
	global_store_dword v[16:17], v5, off sc1
	global_load_dwordx2 v[14:15], v32, s[64:65]
	v_sub_co_u32_e64 v16, s[26:27], v3, v10
	s_nop 1
	v_subb_co_u32_e64 v17, s[26:27], 0, v11, s[26:27]
	s_waitcnt vmcnt(0)
	v_lshl_add_u64 v[14:15], v[16:17], 0, v[14:15]
	ds_write_b64 v32, v[14:15]
.LBB24_69:
	s_or_b64 exec, exec, s[28:29]
	v_cmp_gt_u32_e64 s[26:27], s73, v8
	s_waitcnt lgkmcnt(0)
	s_barrier
	s_and_saveexec_b64 s[28:29], s[26:27]
	s_cbranch_execz .LBB24_71
; %bb.70:
	v_sub_u32_e32 v3, v32, v2
	ds_read_b32 v3, v3 offset:256
	s_waitcnt lgkmcnt(0)
	v_lshrrev_b32_e32 v5, s68, v3
	v_and_b32_e32 v5, s33, v5
	v_lshlrev_b32_e32 v5, 3, v5
	ds_read_b64 v[14:15], v5
	v_xor_b32_e32 v5, 0x80000000, v3
	v_mov_b32_e32 v3, 0
	s_waitcnt lgkmcnt(0)
	v_lshl_add_u64 v[14:15], v[14:15], 2, s[58:59]
	v_lshl_add_u64 v[14:15], v[14:15], 0, v[2:3]
	global_store_dword v[14:15], v5, off
.LBB24_71:
	s_or_b64 exec, exec, s[28:29]
	v_add_u32_e32 v3, 0x200, v8
	v_cmp_gt_u32_e64 s[28:29], s73, v3
	s_and_saveexec_b64 s[30:31], s[28:29]
	s_cbranch_execz .LBB24_73
; %bb.72:
	v_sub_u32_e32 v3, v32, v2
	ds_read_b32 v3, v3 offset:2304
	s_waitcnt lgkmcnt(0)
	v_lshrrev_b32_e32 v5, s68, v3
	v_and_b32_e32 v5, s33, v5
	v_lshlrev_b32_e32 v5, 3, v5
	ds_read_b64 v[14:15], v5
	v_xor_b32_e32 v5, 0x80000000, v3
	v_mov_b32_e32 v3, 0
	s_waitcnt lgkmcnt(0)
	v_lshl_add_u64 v[14:15], v[14:15], 2, s[58:59]
	v_lshl_add_u64 v[14:15], v[14:15], 0, v[2:3]
	global_store_dword v[14:15], v5, off offset:2048
.LBB24_73:
	s_or_b64 exec, exec, s[30:31]
	v_or_b32_e32 v3, 0x400, v8
	v_cmp_gt_u32_e64 s[30:31], s73, v3
	v_lshlrev_b32_e32 v14, 2, v3
	s_and_saveexec_b64 s[34:35], s[30:31]
	s_cbranch_execz .LBB24_75
; %bb.74:
	v_sub_u32_e32 v3, v32, v2
	ds_read_b32 v3, v3 offset:4352
	v_mov_b32_e32 v15, 0
	s_waitcnt lgkmcnt(0)
	v_lshrrev_b32_e32 v5, s68, v3
	v_and_b32_e32 v5, s33, v5
	v_lshlrev_b32_e32 v5, 3, v5
	ds_read_b64 v[16:17], v5
	v_xor_b32_e32 v3, 0x80000000, v3
	s_waitcnt lgkmcnt(0)
	v_lshl_add_u64 v[16:17], v[16:17], 2, s[58:59]
	v_lshl_add_u64 v[16:17], v[16:17], 0, v[14:15]
	global_store_dword v[16:17], v3, off
.LBB24_75:
	s_or_b64 exec, exec, s[34:35]
	v_add_u32_e32 v3, 0x600, v8
	v_cmp_gt_u32_e64 s[34:35], s73, v3
	v_lshlrev_b32_e32 v16, 2, v3
	s_and_saveexec_b64 s[36:37], s[34:35]
	s_cbranch_execz .LBB24_77
; %bb.76:
	v_sub_u32_e32 v3, v32, v2
	ds_read_b32 v3, v3 offset:6400
	v_mov_b32_e32 v17, 0
	s_waitcnt lgkmcnt(0)
	v_lshrrev_b32_e32 v5, s68, v3
	v_and_b32_e32 v5, s33, v5
	v_lshlrev_b32_e32 v5, 3, v5
	ds_read_b64 v[18:19], v5
	v_xor_b32_e32 v3, 0x80000000, v3
	s_waitcnt lgkmcnt(0)
	v_lshl_add_u64 v[18:19], v[18:19], 2, s[58:59]
	v_lshl_add_u64 v[18:19], v[18:19], 0, v[16:17]
	global_store_dword v[18:19], v3, off
.LBB24_77:
	s_or_b64 exec, exec, s[36:37]
	v_or_b32_e32 v3, 0x800, v8
	v_cmp_gt_u32_e64 s[36:37], s73, v3
	v_lshlrev_b32_e32 v18, 2, v3
	s_and_saveexec_b64 s[38:39], s[36:37]
	s_cbranch_execz .LBB24_79
; %bb.78:
	v_sub_u32_e32 v3, v32, v2
	ds_read_b32 v3, v3 offset:8448
	v_mov_b32_e32 v19, 0
	s_waitcnt lgkmcnt(0)
	v_lshrrev_b32_e32 v5, s68, v3
	v_and_b32_e32 v5, s33, v5
	v_lshlrev_b32_e32 v5, 3, v5
	ds_read_b64 v[20:21], v5
	v_xor_b32_e32 v3, 0x80000000, v3
	s_waitcnt lgkmcnt(0)
	v_lshl_add_u64 v[20:21], v[20:21], 2, s[58:59]
	v_lshl_add_u64 v[20:21], v[20:21], 0, v[18:19]
	global_store_dword v[20:21], v3, off
.LBB24_79:
	s_or_b64 exec, exec, s[38:39]
	v_add_u32_e32 v3, 0xa00, v8
	v_cmp_gt_u32_e64 s[38:39], s73, v3
	v_lshlrev_b32_e32 v20, 2, v3
	s_and_saveexec_b64 s[40:41], s[38:39]
	s_cbranch_execz .LBB24_81
; %bb.80:
	v_sub_u32_e32 v3, v32, v2
	ds_read_b32 v3, v3 offset:10496
	v_mov_b32_e32 v21, 0
	s_waitcnt lgkmcnt(0)
	v_lshrrev_b32_e32 v5, s68, v3
	v_and_b32_e32 v5, s33, v5
	v_lshlrev_b32_e32 v5, 3, v5
	ds_read_b64 v[22:23], v5
	v_xor_b32_e32 v3, 0x80000000, v3
	s_waitcnt lgkmcnt(0)
	v_lshl_add_u64 v[22:23], v[22:23], 2, s[58:59]
	v_lshl_add_u64 v[22:23], v[22:23], 0, v[20:21]
	global_store_dword v[22:23], v3, off
.LBB24_81:
	;; [unrolled: 42-line block ×3, first 2 shown]
	s_or_b64 exec, exec, s[44:45]
	v_or_b32_e32 v3, 0x1000, v8
	v_cmp_gt_u32_e64 s[44:45], s73, v3
	v_lshlrev_b32_e32 v26, 2, v3
	s_and_saveexec_b64 s[46:47], s[44:45]
	s_cbranch_execz .LBB24_87
; %bb.86:
	v_sub_u32_e32 v3, v32, v2
	ds_read_b32 v3, v3 offset:16640
	v_mov_b32_e32 v27, 0
	s_waitcnt lgkmcnt(0)
	v_lshrrev_b32_e32 v5, s68, v3
	v_and_b32_e32 v5, s33, v5
	v_lshlrev_b32_e32 v5, 3, v5
	ds_read_b64 v[28:29], v5
	v_xor_b32_e32 v3, 0x80000000, v3
	s_waitcnt lgkmcnt(0)
	v_lshl_add_u64 v[28:29], v[28:29], 2, s[58:59]
	v_lshl_add_u64 v[28:29], v[28:29], 0, v[26:27]
	global_store_dword v[28:29], v3, off
.LBB24_87:
	s_or_b64 exec, exec, s[46:47]
	v_add_u32_e32 v3, 0x1200, v8
	v_cmp_gt_u32_e64 s[46:47], s73, v3
	v_lshlrev_b32_e32 v28, 2, v3
	s_and_saveexec_b64 s[48:49], s[46:47]
	s_cbranch_execz .LBB24_89
; %bb.88:
	ds_read_b32 v3, v2 offset:18688
	v_mov_b32_e32 v29, 0
	s_waitcnt lgkmcnt(0)
	v_lshrrev_b32_e32 v5, s68, v3
	v_and_b32_e32 v5, s33, v5
	v_lshlrev_b32_e32 v5, 3, v5
	ds_read_b64 v[30:31], v5
	v_xor_b32_e32 v3, 0x80000000, v3
	s_waitcnt lgkmcnt(0)
	v_lshl_add_u64 v[30:31], v[30:31], 2, s[58:59]
	v_lshl_add_u64 v[30:31], v[30:31], 0, v[28:29]
	global_store_dword v[30:31], v3, off
.LBB24_89:
	s_or_b64 exec, exec, s[48:49]
	v_or_b32_e32 v3, 0x1400, v8
	v_cmp_gt_u32_e64 s[48:49], s73, v3
	v_lshlrev_b32_e32 v30, 2, v3
	s_and_saveexec_b64 s[50:51], s[48:49]
	s_cbranch_execz .LBB24_91
; %bb.90:
	ds_read_b32 v3, v2 offset:20736
	v_mov_b32_e32 v31, 0
	s_waitcnt lgkmcnt(0)
	v_lshrrev_b32_e32 v5, s68, v3
	v_and_b32_e32 v5, s33, v5
	v_lshlrev_b32_e32 v5, 3, v5
	ds_read_b64 v[44:45], v5
	v_xor_b32_e32 v3, 0x80000000, v3
	s_waitcnt lgkmcnt(0)
	v_lshl_add_u64 v[44:45], v[44:45], 2, s[58:59]
	v_lshl_add_u64 v[44:45], v[44:45], 0, v[30:31]
	global_store_dword v[44:45], v3, off
.LBB24_91:
	s_or_b64 exec, exec, s[50:51]
	v_add_u32_e32 v3, 0x1600, v8
	v_cmp_gt_u32_e64 s[50:51], s73, v3
	v_lshlrev_b32_e32 v8, 2, v3
	s_and_saveexec_b64 s[74:75], s[50:51]
	s_cbranch_execz .LBB24_93
; %bb.92:
	ds_read_b32 v3, v2 offset:22784
	v_mov_b32_e32 v9, 0
	s_waitcnt lgkmcnt(0)
	v_lshrrev_b32_e32 v5, s68, v3
	v_and_b32_e32 v5, s33, v5
	v_lshlrev_b32_e32 v5, 3, v5
	ds_read_b64 v[44:45], v5
	v_xor_b32_e32 v3, 0x80000000, v3
	s_waitcnt lgkmcnt(0)
	v_lshl_add_u64 v[44:45], v[44:45], 2, s[58:59]
	v_lshl_add_u64 v[44:45], v[44:45], 0, v[8:9]
	global_store_dword v[44:45], v3, off
.LBB24_93:
	s_or_b64 exec, exec, s[74:75]
	s_add_u32 s70, s60, s70
	s_addc_u32 s71, s61, s71
	v_mov_b32_e32 v5, 0
	v_lshl_add_u64 v[44:45], s[70:71], 0, v[4:5]
	v_mov_b32_e32 v7, v5
	v_lshl_add_u64 v[4:5], v[44:45], 0, v[6:7]
                                        ; implicit-def: $vgpr3
	s_and_saveexec_b64 s[70:71], vcc
	s_xor_b64 s[70:71], exec, s[70:71]
	s_cbranch_execz .LBB24_105
; %bb.94:
	global_load_dword v3, v[4:5], off
	s_or_b64 exec, exec, s[70:71]
                                        ; implicit-def: $vgpr6
	s_and_saveexec_b64 s[70:71], s[52:53]
	s_cbranch_execnz .LBB24_106
.LBB24_95:
	s_or_b64 exec, exec, s[70:71]
                                        ; implicit-def: $vgpr7
	s_and_saveexec_b64 s[52:53], s[4:5]
	s_cbranch_execz .LBB24_107
.LBB24_96:
	global_load_dword v7, v[4:5], off offset:512
	s_or_b64 exec, exec, s[52:53]
                                        ; implicit-def: $vgpr9
	s_and_saveexec_b64 s[4:5], s[6:7]
	s_cbranch_execnz .LBB24_108
.LBB24_97:
	s_or_b64 exec, exec, s[4:5]
                                        ; implicit-def: $vgpr15
	s_and_saveexec_b64 s[4:5], s[8:9]
	s_cbranch_execz .LBB24_109
.LBB24_98:
	global_load_dword v15, v[4:5], off offset:1024
	s_or_b64 exec, exec, s[4:5]
                                        ; implicit-def: $vgpr17
	s_and_saveexec_b64 s[4:5], s[10:11]
	s_cbranch_execnz .LBB24_110
.LBB24_99:
	s_or_b64 exec, exec, s[4:5]
                                        ; implicit-def: $vgpr19
	s_and_saveexec_b64 s[4:5], s[12:13]
	s_cbranch_execz .LBB24_111
.LBB24_100:
	global_load_dword v19, v[4:5], off offset:1536
	s_or_b64 exec, exec, s[4:5]
                                        ; implicit-def: $vgpr21
	s_and_saveexec_b64 s[4:5], s[14:15]
	s_cbranch_execnz .LBB24_112
.LBB24_101:
	s_or_b64 exec, exec, s[4:5]
                                        ; implicit-def: $vgpr23
	s_and_saveexec_b64 s[4:5], s[16:17]
	s_cbranch_execz .LBB24_113
.LBB24_102:
	global_load_dword v23, v[4:5], off offset:2048
	s_or_b64 exec, exec, s[4:5]
                                        ; implicit-def: $vgpr44
	s_and_saveexec_b64 s[4:5], s[18:19]
	s_cbranch_execnz .LBB24_114
.LBB24_103:
	s_or_b64 exec, exec, s[4:5]
                                        ; implicit-def: $vgpr48
	s_and_saveexec_b64 s[4:5], s[20:21]
	s_cbranch_execz .LBB24_115
.LBB24_104:
	global_load_dword v48, v[4:5], off offset:2560
	s_or_b64 exec, exec, s[4:5]
                                        ; implicit-def: $vgpr51
	s_and_saveexec_b64 s[4:5], s[22:23]
	s_cbranch_execnz .LBB24_116
	s_branch .LBB24_117
.LBB24_105:
	s_or_b64 exec, exec, s[70:71]
                                        ; implicit-def: $vgpr6
	s_and_saveexec_b64 s[70:71], s[52:53]
	s_cbranch_execz .LBB24_95
.LBB24_106:
	global_load_dword v6, v[4:5], off offset:256
	s_or_b64 exec, exec, s[70:71]
                                        ; implicit-def: $vgpr7
	s_and_saveexec_b64 s[52:53], s[4:5]
	s_cbranch_execnz .LBB24_96
.LBB24_107:
	s_or_b64 exec, exec, s[52:53]
                                        ; implicit-def: $vgpr9
	s_and_saveexec_b64 s[4:5], s[6:7]
	s_cbranch_execz .LBB24_97
.LBB24_108:
	global_load_dword v9, v[4:5], off offset:768
	s_or_b64 exec, exec, s[4:5]
                                        ; implicit-def: $vgpr15
	s_and_saveexec_b64 s[4:5], s[8:9]
	s_cbranch_execnz .LBB24_98
.LBB24_109:
	s_or_b64 exec, exec, s[4:5]
                                        ; implicit-def: $vgpr17
	s_and_saveexec_b64 s[4:5], s[10:11]
	s_cbranch_execz .LBB24_99
.LBB24_110:
	global_load_dword v17, v[4:5], off offset:1280
	s_or_b64 exec, exec, s[4:5]
                                        ; implicit-def: $vgpr19
	s_and_saveexec_b64 s[4:5], s[12:13]
	s_cbranch_execnz .LBB24_100
.LBB24_111:
	s_or_b64 exec, exec, s[4:5]
                                        ; implicit-def: $vgpr21
	s_and_saveexec_b64 s[4:5], s[14:15]
	s_cbranch_execz .LBB24_101
.LBB24_112:
	global_load_dword v21, v[4:5], off offset:1792
	s_or_b64 exec, exec, s[4:5]
                                        ; implicit-def: $vgpr23
	s_and_saveexec_b64 s[4:5], s[16:17]
	s_cbranch_execnz .LBB24_102
.LBB24_113:
	s_or_b64 exec, exec, s[4:5]
                                        ; implicit-def: $vgpr44
	s_and_saveexec_b64 s[4:5], s[18:19]
	s_cbranch_execz .LBB24_103
.LBB24_114:
	global_load_dword v44, v[4:5], off offset:2304
	s_or_b64 exec, exec, s[4:5]
                                        ; implicit-def: $vgpr48
	s_and_saveexec_b64 s[4:5], s[20:21]
	s_cbranch_execnz .LBB24_104
.LBB24_115:
	s_or_b64 exec, exec, s[4:5]
                                        ; implicit-def: $vgpr51
	s_and_saveexec_b64 s[4:5], s[22:23]
	s_cbranch_execz .LBB24_117
.LBB24_116:
	global_load_dword v51, v[4:5], off offset:2816
.LBB24_117:
	s_or_b64 exec, exec, s[4:5]
	v_mov_b32_e32 v47, 0
	v_mov_b32_e32 v52, 0
	s_and_saveexec_b64 s[4:5], s[26:27]
	s_cbranch_execz .LBB24_119
; %bb.118:
	ds_read_b32 v4, v2 offset:256
	s_waitcnt lgkmcnt(0)
	v_lshrrev_b32_e32 v4, s68, v4
	v_and_b32_e32 v52, s33, v4
.LBB24_119:
	s_or_b64 exec, exec, s[4:5]
	s_and_saveexec_b64 s[4:5], s[28:29]
	s_cbranch_execz .LBB24_121
; %bb.120:
	ds_read_b32 v4, v2 offset:2304
	s_waitcnt lgkmcnt(0)
	v_lshrrev_b32_e32 v4, s68, v4
	v_and_b32_e32 v47, s33, v4
.LBB24_121:
	s_or_b64 exec, exec, s[4:5]
	v_mov_b32_e32 v45, 0
	v_mov_b32_e32 v50, 0
	s_and_saveexec_b64 s[4:5], s[30:31]
	s_cbranch_execz .LBB24_123
; %bb.122:
	ds_read_b32 v4, v2 offset:4352
	s_waitcnt lgkmcnt(0)
	v_lshrrev_b32_e32 v4, s68, v4
	v_and_b32_e32 v50, s33, v4
.LBB24_123:
	s_or_b64 exec, exec, s[4:5]
	s_and_saveexec_b64 s[4:5], s[34:35]
	s_cbranch_execz .LBB24_125
; %bb.124:
	ds_read_b32 v4, v2 offset:6400
	s_waitcnt lgkmcnt(0)
	v_lshrrev_b32_e32 v4, s68, v4
	v_and_b32_e32 v45, s33, v4
.LBB24_125:
	;; [unrolled: 20-line block ×6, first 2 shown]
	s_or_b64 exec, exec, s[4:5]
	s_barrier
	s_waitcnt vmcnt(0)
	ds_write_b32 v13, v3 offset:256
	ds_write_b32 v34, v6 offset:256
	;; [unrolled: 1-line block ×12, first 2 shown]
	s_waitcnt lgkmcnt(0)
	s_barrier
	s_and_saveexec_b64 s[4:5], s[26:27]
	s_cbranch_execz .LBB24_153
; %bb.142:
	v_lshlrev_b32_e32 v3, 3, v52
	ds_read_b64 v[6:7], v3
	ds_read_b32 v9, v2 offset:256
	v_mov_b32_e32 v3, 0
	s_waitcnt lgkmcnt(1)
	v_lshl_add_u64 v[6:7], v[6:7], 2, s[62:63]
	v_lshl_add_u64 v[6:7], v[6:7], 0, v[2:3]
	s_waitcnt lgkmcnt(0)
	global_store_dword v[6:7], v9, off
	s_or_b64 exec, exec, s[4:5]
	s_and_saveexec_b64 s[4:5], s[28:29]
	s_cbranch_execnz .LBB24_154
.LBB24_143:
	s_or_b64 exec, exec, s[4:5]
	s_and_saveexec_b64 s[4:5], s[30:31]
	s_cbranch_execz .LBB24_155
.LBB24_144:
	v_lshlrev_b32_e32 v3, 3, v50
	ds_read_b64 v[6:7], v3
	ds_read_b32 v3, v2 offset:4352
	v_mov_b32_e32 v15, 0
	s_waitcnt lgkmcnt(1)
	v_lshl_add_u64 v[6:7], v[6:7], 2, s[62:63]
	v_lshl_add_u64 v[6:7], v[6:7], 0, v[14:15]
	s_waitcnt lgkmcnt(0)
	global_store_dword v[6:7], v3, off
	s_or_b64 exec, exec, s[4:5]
	s_and_saveexec_b64 s[4:5], s[34:35]
	s_cbranch_execnz .LBB24_156
.LBB24_145:
	s_or_b64 exec, exec, s[4:5]
	s_and_saveexec_b64 s[4:5], s[36:37]
	s_cbranch_execz .LBB24_157
.LBB24_146:
	v_lshlrev_b32_e32 v3, 3, v49
	ds_read_b64 v[6:7], v3
	ds_read_b32 v3, v2 offset:8448
	v_mov_b32_e32 v19, 0
	s_waitcnt lgkmcnt(1)
	v_lshl_add_u64 v[6:7], v[6:7], 2, s[62:63]
	v_lshl_add_u64 v[6:7], v[6:7], 0, v[18:19]
	s_waitcnt lgkmcnt(0)
	global_store_dword v[6:7], v3, off
	s_or_b64 exec, exec, s[4:5]
	s_and_saveexec_b64 s[4:5], s[38:39]
	s_cbranch_execnz .LBB24_158
.LBB24_147:
	s_or_b64 exec, exec, s[4:5]
	s_and_saveexec_b64 s[4:5], s[40:41]
	s_cbranch_execz .LBB24_159
.LBB24_148:
	v_lshlrev_b32_e32 v3, 3, v46
	ds_read_b64 v[6:7], v3
	ds_read_b32 v3, v2 offset:12544
	v_mov_b32_e32 v23, 0
	s_waitcnt lgkmcnt(1)
	v_lshl_add_u64 v[6:7], v[6:7], 2, s[62:63]
	v_lshl_add_u64 v[6:7], v[6:7], 0, v[22:23]
	s_waitcnt lgkmcnt(0)
	global_store_dword v[6:7], v3, off
	s_or_b64 exec, exec, s[4:5]
	s_and_saveexec_b64 s[4:5], s[42:43]
	s_cbranch_execnz .LBB24_160
.LBB24_149:
	s_or_b64 exec, exec, s[4:5]
	s_and_saveexec_b64 s[4:5], s[44:45]
	s_cbranch_execz .LBB24_161
.LBB24_150:
	v_lshlrev_b32_e32 v3, 3, v29
	ds_read_b64 v[6:7], v3
	ds_read_b32 v3, v2 offset:16640
	v_mov_b32_e32 v27, 0
	s_waitcnt lgkmcnt(1)
	v_lshl_add_u64 v[6:7], v[6:7], 2, s[62:63]
	v_lshl_add_u64 v[6:7], v[6:7], 0, v[26:27]
	s_waitcnt lgkmcnt(0)
	global_store_dword v[6:7], v3, off
	s_or_b64 exec, exec, s[4:5]
	s_and_saveexec_b64 s[4:5], s[46:47]
	s_cbranch_execnz .LBB24_162
.LBB24_151:
	s_or_b64 exec, exec, s[4:5]
	s_and_saveexec_b64 s[4:5], s[48:49]
	s_cbranch_execz .LBB24_163
.LBB24_152:
	v_lshlrev_b32_e32 v3, 3, v31
	ds_read_b64 v[6:7], v3
	ds_read_b32 v3, v2 offset:20736
	v_mov_b32_e32 v31, 0
	s_waitcnt lgkmcnt(1)
	v_lshl_add_u64 v[6:7], v[6:7], 2, s[62:63]
	v_lshl_add_u64 v[6:7], v[6:7], 0, v[30:31]
	s_waitcnt lgkmcnt(0)
	global_store_dword v[6:7], v3, off
	s_or_b64 exec, exec, s[4:5]
	s_and_saveexec_b64 s[4:5], s[50:51]
	s_cbranch_execnz .LBB24_164
	s_branch .LBB24_165
.LBB24_153:
	s_or_b64 exec, exec, s[4:5]
	s_and_saveexec_b64 s[4:5], s[28:29]
	s_cbranch_execz .LBB24_143
.LBB24_154:
	v_lshlrev_b32_e32 v3, 3, v47
	ds_read_b64 v[6:7], v3
	ds_read_b32 v9, v2 offset:2304
	v_mov_b32_e32 v3, 0
	s_waitcnt lgkmcnt(1)
	v_lshl_add_u64 v[6:7], v[6:7], 2, s[62:63]
	v_lshl_add_u64 v[6:7], v[6:7], 0, v[2:3]
	s_waitcnt lgkmcnt(0)
	global_store_dword v[6:7], v9, off offset:2048
	s_or_b64 exec, exec, s[4:5]
	s_and_saveexec_b64 s[4:5], s[30:31]
	s_cbranch_execnz .LBB24_144
.LBB24_155:
	s_or_b64 exec, exec, s[4:5]
	s_and_saveexec_b64 s[4:5], s[34:35]
	s_cbranch_execz .LBB24_145
.LBB24_156:
	v_lshlrev_b32_e32 v3, 3, v45
	ds_read_b64 v[6:7], v3
	ds_read_b32 v3, v2 offset:6400
	v_mov_b32_e32 v17, 0
	s_waitcnt lgkmcnt(1)
	v_lshl_add_u64 v[6:7], v[6:7], 2, s[62:63]
	v_lshl_add_u64 v[6:7], v[6:7], 0, v[16:17]
	s_waitcnt lgkmcnt(0)
	global_store_dword v[6:7], v3, off
	s_or_b64 exec, exec, s[4:5]
	s_and_saveexec_b64 s[4:5], s[36:37]
	s_cbranch_execnz .LBB24_146
.LBB24_157:
	s_or_b64 exec, exec, s[4:5]
	s_and_saveexec_b64 s[4:5], s[38:39]
	s_cbranch_execz .LBB24_147
.LBB24_158:
	v_lshlrev_b32_e32 v3, 3, v27
	ds_read_b64 v[6:7], v3
	ds_read_b32 v3, v2 offset:10496
	v_mov_b32_e32 v21, 0
	s_waitcnt lgkmcnt(1)
	v_lshl_add_u64 v[6:7], v[6:7], 2, s[62:63]
	v_lshl_add_u64 v[6:7], v[6:7], 0, v[20:21]
	s_waitcnt lgkmcnt(0)
	global_store_dword v[6:7], v3, off
	s_or_b64 exec, exec, s[4:5]
	s_and_saveexec_b64 s[4:5], s[40:41]
	s_cbranch_execnz .LBB24_148
.LBB24_159:
	s_or_b64 exec, exec, s[4:5]
	s_and_saveexec_b64 s[4:5], s[42:43]
	s_cbranch_execz .LBB24_149
.LBB24_160:
	v_lshlrev_b32_e32 v3, 3, v25
	ds_read_b64 v[6:7], v3
	ds_read_b32 v3, v2 offset:14592
	v_mov_b32_e32 v25, 0
	s_waitcnt lgkmcnt(1)
	v_lshl_add_u64 v[6:7], v[6:7], 2, s[62:63]
	v_lshl_add_u64 v[6:7], v[6:7], 0, v[24:25]
	s_waitcnt lgkmcnt(0)
	global_store_dword v[6:7], v3, off
	s_or_b64 exec, exec, s[4:5]
	s_and_saveexec_b64 s[4:5], s[44:45]
	s_cbranch_execnz .LBB24_150
.LBB24_161:
	s_or_b64 exec, exec, s[4:5]
	s_and_saveexec_b64 s[4:5], s[46:47]
	s_cbranch_execz .LBB24_151
.LBB24_162:
	v_lshlrev_b32_e32 v3, 3, v5
	ds_read_b64 v[6:7], v3
	ds_read_b32 v3, v2 offset:18688
	v_mov_b32_e32 v29, 0
	s_waitcnt lgkmcnt(1)
	v_lshl_add_u64 v[6:7], v[6:7], 2, s[62:63]
	v_lshl_add_u64 v[6:7], v[6:7], 0, v[28:29]
	s_waitcnt lgkmcnt(0)
	global_store_dword v[6:7], v3, off
	s_or_b64 exec, exec, s[4:5]
	s_and_saveexec_b64 s[4:5], s[48:49]
	s_cbranch_execnz .LBB24_152
.LBB24_163:
	s_or_b64 exec, exec, s[4:5]
	s_and_saveexec_b64 s[4:5], s[50:51]
	s_cbranch_execz .LBB24_165
.LBB24_164:
	v_lshlrev_b32_e32 v3, 3, v4
	ds_read_b64 v[4:5], v3
	ds_read_b32 v6, v2 offset:22784
	v_mov_b32_e32 v9, 0
	s_waitcnt lgkmcnt(1)
	v_lshl_add_u64 v[2:3], v[4:5], 2, s[62:63]
	v_lshl_add_u64 v[2:3], v[2:3], 0, v[8:9]
	s_waitcnt lgkmcnt(0)
	global_store_dword v[2:3], v6, off
.LBB24_165:
	s_or_b64 exec, exec, s[4:5]
	s_add_i32 s3, s3, -1
	s_cmp_eq_u32 s2, s3
	s_cselect_b64 s[4:5], -1, 0
	s_xor_b64 s[6:7], s[24:25], -1
	s_and_b64 s[6:7], s[6:7], s[4:5]
	s_and_saveexec_b64 s[4:5], s[6:7]
	s_cbranch_execz .LBB24_167
; %bb.166:
	ds_read_b64 v[2:3], v32
	v_mov_b32_e32 v13, 0
	v_lshl_add_u64 v[4:5], v[10:11], 0, v[12:13]
	s_waitcnt lgkmcnt(0)
	v_lshl_add_u64 v[2:3], v[4:5], 0, v[2:3]
	global_store_dwordx2 v32, v[2:3], s[66:67]
.LBB24_167:
	s_or_b64 exec, exec, s[4:5]
	s_mov_b64 s[4:5], 0
.LBB24_168:
	s_and_b64 vcc, exec, s[4:5]
	s_cbranch_vccz .LBB24_215
; %bb.169:
	s_mov_b32 s73, 0
	s_lshl_b64 s[10:11], s[72:73], 2
	s_add_u32 s4, s56, s10
	v_mov_b32_e32 v9, 0
	v_mbcnt_hi_u32_b32 v1, -1, v1
	v_and_b32_e32 v7, 0x1c0, v0
	s_addc_u32 s5, s57, s11
	v_mul_u32_u24_e32 v4, 12, v7
	v_lshlrev_b32_e32 v2, 2, v1
	v_mov_b32_e32 v3, v9
	v_lshl_add_u64 v[10:11], s[4:5], 0, v[2:3]
	v_lshlrev_b32_e32 v4, 2, v4
	v_mov_b32_e32 v5, v9
	v_lshl_add_u64 v[10:11], v[10:11], 0, v[4:5]
	global_load_dword v3, v[10:11], off
	s_load_dword s4, s[0:1], 0x5c
	s_load_dword s3, s[0:1], 0x50
	s_add_u32 s0, s0, 0x50
	s_addc_u32 s1, s1, 0
	v_bfe_u32 v8, v0, 10, 10
	s_waitcnt lgkmcnt(0)
	s_lshr_b32 s4, s4, 16
	s_cmp_lt_u32 s2, s3
	s_cselect_b32 s5, 12, 18
	s_add_u32 s0, s0, s5
	s_addc_u32 s1, s1, 0
	global_load_ushort v5, v9, s[0:1]
	global_load_dword v12, v[10:11], off offset:256
	global_load_dword v17, v[10:11], off offset:512
	;; [unrolled: 1-line block ×11, first 2 shown]
	v_bfe_u32 v11, v0, 20, 10
	v_mad_u32_u24 v13, v11, s4, v8
	s_lshl_b32 s0, -1, s69
	v_and_b32_e32 v6, 0x3ff, v0
	v_mov_b32_e32 v10, v9
	v_mov_b32_e32 v14, v9
	s_not_b32 s14, s0
	v_mov_b32_e32 v22, v9
	v_mov_b32_e32 v28, v9
	v_lshlrev_b32_e32 v0, 2, v6
	ds_write_b32 v0, v9 offset:32
	s_waitcnt lgkmcnt(0)
	s_barrier
	s_waitcnt vmcnt(12)
	; wave barrier
	v_xor_b32_e32 v3, 0x80000000, v3
	v_lshrrev_b32_e32 v8, s68, v3
	v_bitop3_b32 v16, v8, s0, v8 bitop3:0x30
	v_and_b32_e32 v8, 1, v16
	v_lshlrev_b32_e32 v11, 30, v16
	v_lshlrev_b32_e32 v15, 29, v16
	s_waitcnt vmcnt(11)
	v_mad_u64_u32 v[38:39], s[0:1], v13, v5, v[6:7]
	v_lshl_add_u64 v[42:43], v[8:9], 0, -1
	v_cmp_ne_u32_e32 vcc, 0, v8
	v_not_b32_e32 v5, v11
	v_lshlrev_b32_e32 v23, 28, v16
	v_lshlrev_b32_e32 v29, 27, v16
	v_cmp_gt_i64_e64 s[0:1], 0, v[10:11]
	v_cmp_gt_i64_e64 s[4:5], 0, v[14:15]
	v_not_b32_e32 v8, v15
	v_xor_b32_e32 v15, vcc_lo, v42
	v_ashrrev_i32_e32 v5, 31, v5
	v_mul_lo_u32 v18, v16, 36
	v_not_b32_e32 v10, v23
	v_not_b32_e32 v11, v29
	v_lshrrev_b32_e32 v25, 6, v38
	v_xor_b32_e32 v13, vcc_hi, v43
	v_ashrrev_i32_e32 v8, 31, v8
	v_and_b32_e32 v15, exec_lo, v15
	v_xor_b32_e32 v16, s1, v5
	v_xor_b32_e32 v5, s0, v5
	v_cmp_gt_i64_e64 s[6:7], 0, v[22:23]
	v_cmp_gt_i64_e64 s[8:9], 0, v[28:29]
	v_ashrrev_i32_e32 v10, 31, v10
	v_ashrrev_i32_e32 v11, 31, v11
	v_lshl_add_u32 v14, v25, 2, v18
	v_and_b32_e32 v13, exec_hi, v13
	v_xor_b32_e32 v18, s5, v8
	v_xor_b32_e32 v8, s4, v8
	v_and_b32_e32 v5, v15, v5
	v_xor_b32_e32 v20, s7, v10
	v_xor_b32_e32 v10, s6, v10
	v_xor_b32_e32 v22, s9, v11
	v_xor_b32_e32 v23, s8, v11
	v_and_b32_e32 v11, v13, v16
	v_and_b32_e32 v5, v5, v8
	;; [unrolled: 1-line block ×7, first 2 shown]
	v_mbcnt_lo_u32_b32 v5, v10, 0
	v_mbcnt_hi_u32_b32 v5, v11, v5
	v_cmp_eq_u32_e32 vcc, 0, v5
	v_cmp_ne_u64_e64 s[0:1], 0, v[10:11]
	s_and_b64 s[4:5], s[0:1], vcc
	s_and_saveexec_b64 s[0:1], s[4:5]
; %bb.170:
	v_bcnt_u32_b32 v8, v10, 0
	v_bcnt_u32_b32 v8, v11, v8
	ds_write_b32 v14, v8 offset:32
; %bb.171:
	s_or_b64 exec, exec, s[0:1]
	s_waitcnt vmcnt(10)
	v_xor_b32_e32 v12, 0x80000000, v12
	v_lshrrev_b32_e32 v8, s68, v12
	v_and_b32_e32 v15, s14, v8
	v_mul_lo_u32 v8, v15, 36
	v_lshl_add_u32 v16, v25, 2, v8
	v_and_b32_e32 v8, 1, v15
	v_lshl_add_u64 v[10:11], v[8:9], 0, -1
	v_cmp_ne_u32_e32 vcc, 0, v8
	; wave barrier
	s_nop 1
	v_xor_b32_e32 v10, vcc_lo, v10
	v_xor_b32_e32 v8, vcc_hi, v11
	v_and_b32_e32 v18, exec_lo, v10
	v_lshlrev_b32_e32 v11, 30, v15
	v_mov_b32_e32 v10, v9
	v_cmp_gt_i64_e32 vcc, 0, v[10:11]
	v_not_b32_e32 v10, v11
	v_ashrrev_i32_e32 v10, 31, v10
	v_and_b32_e32 v8, exec_hi, v8
	v_xor_b32_e32 v11, vcc_hi, v10
	v_xor_b32_e32 v10, vcc_lo, v10
	v_and_b32_e32 v8, v8, v11
	v_and_b32_e32 v18, v18, v10
	v_lshlrev_b32_e32 v11, 29, v15
	v_mov_b32_e32 v10, v9
	v_cmp_gt_i64_e32 vcc, 0, v[10:11]
	v_not_b32_e32 v10, v11
	v_ashrrev_i32_e32 v10, 31, v10
	v_xor_b32_e32 v11, vcc_hi, v10
	v_xor_b32_e32 v10, vcc_lo, v10
	v_and_b32_e32 v8, v8, v11
	v_and_b32_e32 v18, v18, v10
	v_lshlrev_b32_e32 v11, 28, v15
	v_mov_b32_e32 v10, v9
	v_cmp_gt_i64_e32 vcc, 0, v[10:11]
	v_not_b32_e32 v10, v11
	v_ashrrev_i32_e32 v10, 31, v10
	v_xor_b32_e32 v11, vcc_hi, v10
	v_xor_b32_e32 v10, vcc_lo, v10
	v_and_b32_e32 v8, v8, v11
	v_lshlrev_b32_e32 v11, 27, v15
	v_and_b32_e32 v18, v18, v10
	v_mov_b32_e32 v10, v9
	v_not_b32_e32 v9, v11
	v_cmp_gt_i64_e32 vcc, 0, v[10:11]
	v_ashrrev_i32_e32 v9, 31, v9
	ds_read_b32 v13, v16 offset:32
	v_xor_b32_e32 v10, vcc_hi, v9
	v_xor_b32_e32 v11, vcc_lo, v9
	v_and_b32_e32 v9, v8, v10
	v_and_b32_e32 v8, v18, v11
	v_mbcnt_lo_u32_b32 v10, v8, 0
	v_mbcnt_hi_u32_b32 v15, v9, v10
	v_cmp_eq_u32_e32 vcc, 0, v15
	v_cmp_ne_u64_e64 s[0:1], 0, v[8:9]
	s_and_b64 s[4:5], s[0:1], vcc
	; wave barrier
	s_and_saveexec_b64 s[0:1], s[4:5]
	s_cbranch_execz .LBB24_173
; %bb.172:
	v_bcnt_u32_b32 v8, v8, 0
	v_bcnt_u32_b32 v8, v9, v8
	s_waitcnt lgkmcnt(0)
	v_add_u32_e32 v8, v13, v8
	ds_write_b32 v16, v8 offset:32
.LBB24_173:
	s_or_b64 exec, exec, s[0:1]
	s_waitcnt vmcnt(9)
	v_xor_b32_e32 v17, 0x80000000, v17
	v_lshrrev_b32_e32 v8, s68, v17
	v_and_b32_e32 v20, s14, v8
	v_mul_lo_u32 v8, v20, 36
	v_lshl_add_u32 v22, v25, 2, v8
	v_and_b32_e32 v8, 1, v20
	v_mov_b32_e32 v9, 0
	v_lshl_add_u64 v[10:11], v[8:9], 0, -1
	v_cmp_ne_u32_e32 vcc, 0, v8
	; wave barrier
	s_nop 1
	v_xor_b32_e32 v10, vcc_lo, v10
	v_xor_b32_e32 v8, vcc_hi, v11
	v_and_b32_e32 v23, exec_lo, v10
	v_lshlrev_b32_e32 v11, 30, v20
	v_mov_b32_e32 v10, v9
	v_cmp_gt_i64_e32 vcc, 0, v[10:11]
	v_not_b32_e32 v10, v11
	v_ashrrev_i32_e32 v10, 31, v10
	v_and_b32_e32 v8, exec_hi, v8
	v_xor_b32_e32 v11, vcc_hi, v10
	v_xor_b32_e32 v10, vcc_lo, v10
	v_and_b32_e32 v8, v8, v11
	v_and_b32_e32 v23, v23, v10
	v_lshlrev_b32_e32 v11, 29, v20
	v_mov_b32_e32 v10, v9
	v_cmp_gt_i64_e32 vcc, 0, v[10:11]
	v_not_b32_e32 v10, v11
	v_ashrrev_i32_e32 v10, 31, v10
	v_xor_b32_e32 v11, vcc_hi, v10
	v_xor_b32_e32 v10, vcc_lo, v10
	v_and_b32_e32 v8, v8, v11
	v_and_b32_e32 v23, v23, v10
	v_lshlrev_b32_e32 v11, 28, v20
	v_mov_b32_e32 v10, v9
	v_cmp_gt_i64_e32 vcc, 0, v[10:11]
	v_not_b32_e32 v10, v11
	v_ashrrev_i32_e32 v10, 31, v10
	v_xor_b32_e32 v11, vcc_hi, v10
	v_xor_b32_e32 v10, vcc_lo, v10
	v_and_b32_e32 v8, v8, v11
	v_and_b32_e32 v23, v23, v10
	v_lshlrev_b32_e32 v11, 27, v20
	v_mov_b32_e32 v10, v9
	v_cmp_gt_i64_e32 vcc, 0, v[10:11]
	v_not_b32_e32 v10, v11
	v_ashrrev_i32_e32 v10, 31, v10
	v_xor_b32_e32 v11, vcc_hi, v10
	v_xor_b32_e32 v10, vcc_lo, v10
	ds_read_b32 v18, v22 offset:32
	v_and_b32_e32 v10, v23, v10
	v_and_b32_e32 v11, v8, v11
	v_mbcnt_lo_u32_b32 v8, v10, 0
	v_mbcnt_hi_u32_b32 v20, v11, v8
	v_cmp_eq_u32_e32 vcc, 0, v20
	v_cmp_ne_u64_e64 s[0:1], 0, v[10:11]
	s_and_b64 s[4:5], s[0:1], vcc
	; wave barrier
	s_and_saveexec_b64 s[0:1], s[4:5]
	s_cbranch_execz .LBB24_175
; %bb.174:
	v_bcnt_u32_b32 v8, v10, 0
	v_bcnt_u32_b32 v8, v11, v8
	s_waitcnt lgkmcnt(0)
	v_add_u32_e32 v8, v18, v8
	ds_write_b32 v22, v8 offset:32
.LBB24_175:
	s_or_b64 exec, exec, s[0:1]
	s_waitcnt vmcnt(8)
	v_xor_b32_e32 v21, 0x80000000, v21
	v_lshrrev_b32_e32 v8, s68, v21
	v_and_b32_e32 v26, s14, v8
	v_mul_lo_u32 v8, v26, 36
	v_lshl_add_u32 v28, v25, 2, v8
	v_and_b32_e32 v8, 1, v26
	v_lshl_add_u64 v[10:11], v[8:9], 0, -1
	v_cmp_ne_u32_e32 vcc, 0, v8
	; wave barrier
	s_nop 1
	v_xor_b32_e32 v10, vcc_lo, v10
	v_xor_b32_e32 v8, vcc_hi, v11
	v_and_b32_e32 v29, exec_lo, v10
	v_lshlrev_b32_e32 v11, 30, v26
	v_mov_b32_e32 v10, v9
	v_cmp_gt_i64_e32 vcc, 0, v[10:11]
	v_not_b32_e32 v10, v11
	v_ashrrev_i32_e32 v10, 31, v10
	v_and_b32_e32 v8, exec_hi, v8
	v_xor_b32_e32 v11, vcc_hi, v10
	v_xor_b32_e32 v10, vcc_lo, v10
	v_and_b32_e32 v8, v8, v11
	v_and_b32_e32 v29, v29, v10
	v_lshlrev_b32_e32 v11, 29, v26
	v_mov_b32_e32 v10, v9
	v_cmp_gt_i64_e32 vcc, 0, v[10:11]
	v_not_b32_e32 v10, v11
	v_ashrrev_i32_e32 v10, 31, v10
	v_xor_b32_e32 v11, vcc_hi, v10
	v_xor_b32_e32 v10, vcc_lo, v10
	v_and_b32_e32 v8, v8, v11
	v_and_b32_e32 v29, v29, v10
	v_lshlrev_b32_e32 v11, 28, v26
	v_mov_b32_e32 v10, v9
	v_cmp_gt_i64_e32 vcc, 0, v[10:11]
	v_not_b32_e32 v10, v11
	v_ashrrev_i32_e32 v10, 31, v10
	v_xor_b32_e32 v11, vcc_hi, v10
	v_xor_b32_e32 v10, vcc_lo, v10
	v_and_b32_e32 v8, v8, v11
	v_lshlrev_b32_e32 v11, 27, v26
	v_and_b32_e32 v29, v29, v10
	v_mov_b32_e32 v10, v9
	v_not_b32_e32 v9, v11
	v_cmp_gt_i64_e32 vcc, 0, v[10:11]
	v_ashrrev_i32_e32 v9, 31, v9
	ds_read_b32 v23, v28 offset:32
	v_xor_b32_e32 v10, vcc_hi, v9
	v_xor_b32_e32 v11, vcc_lo, v9
	v_and_b32_e32 v9, v8, v10
	v_and_b32_e32 v8, v29, v11
	v_mbcnt_lo_u32_b32 v10, v8, 0
	v_mbcnt_hi_u32_b32 v26, v9, v10
	v_cmp_eq_u32_e32 vcc, 0, v26
	v_cmp_ne_u64_e64 s[0:1], 0, v[8:9]
	s_and_b64 s[4:5], s[0:1], vcc
	; wave barrier
	s_and_saveexec_b64 s[0:1], s[4:5]
	s_cbranch_execz .LBB24_177
; %bb.176:
	v_bcnt_u32_b32 v8, v8, 0
	v_bcnt_u32_b32 v8, v9, v8
	s_waitcnt lgkmcnt(0)
	v_add_u32_e32 v8, v23, v8
	ds_write_b32 v28, v8 offset:32
.LBB24_177:
	s_or_b64 exec, exec, s[0:1]
	s_waitcnt vmcnt(7)
	v_xor_b32_e32 v27, 0x80000000, v27
	v_lshrrev_b32_e32 v8, s68, v27
	v_and_b32_e32 v31, s14, v8
	v_mul_lo_u32 v8, v31, 36
	v_lshl_add_u32 v33, v25, 2, v8
	v_and_b32_e32 v8, 1, v31
	v_mov_b32_e32 v9, 0
	v_lshl_add_u64 v[10:11], v[8:9], 0, -1
	v_cmp_ne_u32_e32 vcc, 0, v8
	; wave barrier
	s_nop 1
	v_xor_b32_e32 v10, vcc_lo, v10
	v_xor_b32_e32 v8, vcc_hi, v11
	v_and_b32_e32 v34, exec_lo, v10
	v_lshlrev_b32_e32 v11, 30, v31
	v_mov_b32_e32 v10, v9
	v_cmp_gt_i64_e32 vcc, 0, v[10:11]
	v_not_b32_e32 v10, v11
	v_ashrrev_i32_e32 v10, 31, v10
	v_and_b32_e32 v8, exec_hi, v8
	v_xor_b32_e32 v11, vcc_hi, v10
	v_xor_b32_e32 v10, vcc_lo, v10
	v_and_b32_e32 v8, v8, v11
	v_and_b32_e32 v34, v34, v10
	v_lshlrev_b32_e32 v11, 29, v31
	v_mov_b32_e32 v10, v9
	v_cmp_gt_i64_e32 vcc, 0, v[10:11]
	v_not_b32_e32 v10, v11
	v_ashrrev_i32_e32 v10, 31, v10
	v_xor_b32_e32 v11, vcc_hi, v10
	v_xor_b32_e32 v10, vcc_lo, v10
	v_and_b32_e32 v8, v8, v11
	v_and_b32_e32 v34, v34, v10
	v_lshlrev_b32_e32 v11, 28, v31
	v_mov_b32_e32 v10, v9
	v_cmp_gt_i64_e32 vcc, 0, v[10:11]
	v_not_b32_e32 v10, v11
	v_ashrrev_i32_e32 v10, 31, v10
	;; [unrolled: 9-line block ×3, first 2 shown]
	v_xor_b32_e32 v11, vcc_hi, v10
	v_xor_b32_e32 v10, vcc_lo, v10
	ds_read_b32 v29, v33 offset:32
	v_and_b32_e32 v10, v34, v10
	v_and_b32_e32 v11, v8, v11
	v_mbcnt_lo_u32_b32 v8, v10, 0
	v_mbcnt_hi_u32_b32 v31, v11, v8
	v_cmp_eq_u32_e32 vcc, 0, v31
	v_cmp_ne_u64_e64 s[0:1], 0, v[10:11]
	s_and_b64 s[4:5], s[0:1], vcc
	; wave barrier
	s_and_saveexec_b64 s[0:1], s[4:5]
	s_cbranch_execz .LBB24_179
; %bb.178:
	v_bcnt_u32_b32 v8, v10, 0
	v_bcnt_u32_b32 v8, v11, v8
	s_waitcnt lgkmcnt(0)
	v_add_u32_e32 v8, v29, v8
	ds_write_b32 v33, v8 offset:32
.LBB24_179:
	s_or_b64 exec, exec, s[0:1]
	s_waitcnt vmcnt(6)
	v_xor_b32_e32 v32, 0x80000000, v32
	v_lshrrev_b32_e32 v8, s68, v32
	v_and_b32_e32 v36, s14, v8
	v_mul_lo_u32 v8, v36, 36
	v_lshl_add_u32 v39, v25, 2, v8
	v_and_b32_e32 v8, 1, v36
	v_lshl_add_u64 v[10:11], v[8:9], 0, -1
	v_cmp_ne_u32_e32 vcc, 0, v8
	; wave barrier
	s_nop 1
	v_xor_b32_e32 v10, vcc_lo, v10
	v_xor_b32_e32 v8, vcc_hi, v11
	v_and_b32_e32 v38, exec_lo, v10
	v_lshlrev_b32_e32 v11, 30, v36
	v_mov_b32_e32 v10, v9
	v_cmp_gt_i64_e32 vcc, 0, v[10:11]
	v_not_b32_e32 v10, v11
	v_ashrrev_i32_e32 v10, 31, v10
	v_and_b32_e32 v8, exec_hi, v8
	v_xor_b32_e32 v11, vcc_hi, v10
	v_xor_b32_e32 v10, vcc_lo, v10
	v_and_b32_e32 v8, v8, v11
	v_and_b32_e32 v38, v38, v10
	v_lshlrev_b32_e32 v11, 29, v36
	v_mov_b32_e32 v10, v9
	v_cmp_gt_i64_e32 vcc, 0, v[10:11]
	v_not_b32_e32 v10, v11
	v_ashrrev_i32_e32 v10, 31, v10
	v_xor_b32_e32 v11, vcc_hi, v10
	v_xor_b32_e32 v10, vcc_lo, v10
	v_and_b32_e32 v8, v8, v11
	v_and_b32_e32 v38, v38, v10
	v_lshlrev_b32_e32 v11, 28, v36
	v_mov_b32_e32 v10, v9
	v_cmp_gt_i64_e32 vcc, 0, v[10:11]
	v_not_b32_e32 v10, v11
	v_ashrrev_i32_e32 v10, 31, v10
	v_xor_b32_e32 v11, vcc_hi, v10
	v_xor_b32_e32 v10, vcc_lo, v10
	v_and_b32_e32 v8, v8, v11
	v_lshlrev_b32_e32 v11, 27, v36
	v_and_b32_e32 v38, v38, v10
	v_mov_b32_e32 v10, v9
	v_not_b32_e32 v9, v11
	v_cmp_gt_i64_e32 vcc, 0, v[10:11]
	v_ashrrev_i32_e32 v9, 31, v9
	ds_read_b32 v34, v39 offset:32
	v_xor_b32_e32 v10, vcc_hi, v9
	v_xor_b32_e32 v11, vcc_lo, v9
	v_and_b32_e32 v9, v8, v10
	v_and_b32_e32 v8, v38, v11
	v_mbcnt_lo_u32_b32 v10, v8, 0
	v_mbcnt_hi_u32_b32 v36, v9, v10
	v_cmp_eq_u32_e32 vcc, 0, v36
	v_cmp_ne_u64_e64 s[0:1], 0, v[8:9]
	s_and_b64 s[4:5], s[0:1], vcc
	; wave barrier
	s_and_saveexec_b64 s[0:1], s[4:5]
	s_cbranch_execz .LBB24_181
; %bb.180:
	v_bcnt_u32_b32 v8, v8, 0
	v_bcnt_u32_b32 v8, v9, v8
	s_waitcnt lgkmcnt(0)
	v_add_u32_e32 v8, v34, v8
	ds_write_b32 v39, v8 offset:32
.LBB24_181:
	s_or_b64 exec, exec, s[0:1]
	s_waitcnt vmcnt(5)
	v_xor_b32_e32 v37, 0x80000000, v37
	v_lshrrev_b32_e32 v8, s68, v37
	v_and_b32_e32 v41, s14, v8
	v_mul_lo_u32 v8, v41, 36
	v_lshl_add_u32 v43, v25, 2, v8
	v_and_b32_e32 v8, 1, v41
	v_mov_b32_e32 v9, 0
	v_lshl_add_u64 v[10:11], v[8:9], 0, -1
	v_cmp_ne_u32_e32 vcc, 0, v8
	; wave barrier
	s_nop 1
	v_xor_b32_e32 v10, vcc_lo, v10
	v_xor_b32_e32 v8, vcc_hi, v11
	v_and_b32_e32 v42, exec_lo, v10
	v_lshlrev_b32_e32 v11, 30, v41
	v_mov_b32_e32 v10, v9
	v_cmp_gt_i64_e32 vcc, 0, v[10:11]
	v_not_b32_e32 v10, v11
	v_ashrrev_i32_e32 v10, 31, v10
	v_and_b32_e32 v8, exec_hi, v8
	v_xor_b32_e32 v11, vcc_hi, v10
	v_xor_b32_e32 v10, vcc_lo, v10
	v_and_b32_e32 v8, v8, v11
	v_and_b32_e32 v42, v42, v10
	v_lshlrev_b32_e32 v11, 29, v41
	v_mov_b32_e32 v10, v9
	v_cmp_gt_i64_e32 vcc, 0, v[10:11]
	v_not_b32_e32 v10, v11
	v_ashrrev_i32_e32 v10, 31, v10
	v_xor_b32_e32 v11, vcc_hi, v10
	v_xor_b32_e32 v10, vcc_lo, v10
	v_and_b32_e32 v8, v8, v11
	v_and_b32_e32 v42, v42, v10
	v_lshlrev_b32_e32 v11, 28, v41
	v_mov_b32_e32 v10, v9
	v_cmp_gt_i64_e32 vcc, 0, v[10:11]
	v_not_b32_e32 v10, v11
	v_ashrrev_i32_e32 v10, 31, v10
	;; [unrolled: 9-line block ×3, first 2 shown]
	v_xor_b32_e32 v11, vcc_hi, v10
	v_xor_b32_e32 v10, vcc_lo, v10
	ds_read_b32 v38, v43 offset:32
	v_and_b32_e32 v10, v42, v10
	v_and_b32_e32 v11, v8, v11
	v_mbcnt_lo_u32_b32 v8, v10, 0
	v_mbcnt_hi_u32_b32 v41, v11, v8
	v_cmp_eq_u32_e32 vcc, 0, v41
	v_cmp_ne_u64_e64 s[0:1], 0, v[10:11]
	s_and_b64 s[4:5], s[0:1], vcc
	; wave barrier
	s_and_saveexec_b64 s[0:1], s[4:5]
	s_cbranch_execz .LBB24_183
; %bb.182:
	v_bcnt_u32_b32 v8, v10, 0
	v_bcnt_u32_b32 v8, v11, v8
	s_waitcnt lgkmcnt(0)
	v_add_u32_e32 v8, v38, v8
	ds_write_b32 v43, v8 offset:32
.LBB24_183:
	s_or_b64 exec, exec, s[0:1]
	s_waitcnt vmcnt(4)
	v_xor_b32_e32 v40, 0x80000000, v40
	v_lshrrev_b32_e32 v8, s68, v40
	v_and_b32_e32 v44, s14, v8
	v_mul_lo_u32 v8, v44, 36
	v_lshl_add_u32 v46, v25, 2, v8
	v_and_b32_e32 v8, 1, v44
	v_lshl_add_u64 v[10:11], v[8:9], 0, -1
	v_cmp_ne_u32_e32 vcc, 0, v8
	; wave barrier
	s_nop 1
	v_xor_b32_e32 v10, vcc_lo, v10
	v_xor_b32_e32 v8, vcc_hi, v11
	v_and_b32_e32 v45, exec_lo, v10
	v_lshlrev_b32_e32 v11, 30, v44
	v_mov_b32_e32 v10, v9
	v_cmp_gt_i64_e32 vcc, 0, v[10:11]
	v_not_b32_e32 v10, v11
	v_ashrrev_i32_e32 v10, 31, v10
	v_and_b32_e32 v8, exec_hi, v8
	v_xor_b32_e32 v11, vcc_hi, v10
	v_xor_b32_e32 v10, vcc_lo, v10
	v_and_b32_e32 v8, v8, v11
	v_and_b32_e32 v45, v45, v10
	v_lshlrev_b32_e32 v11, 29, v44
	v_mov_b32_e32 v10, v9
	v_cmp_gt_i64_e32 vcc, 0, v[10:11]
	v_not_b32_e32 v10, v11
	v_ashrrev_i32_e32 v10, 31, v10
	v_xor_b32_e32 v11, vcc_hi, v10
	v_xor_b32_e32 v10, vcc_lo, v10
	v_and_b32_e32 v8, v8, v11
	v_and_b32_e32 v45, v45, v10
	v_lshlrev_b32_e32 v11, 28, v44
	v_mov_b32_e32 v10, v9
	v_cmp_gt_i64_e32 vcc, 0, v[10:11]
	v_not_b32_e32 v10, v11
	v_ashrrev_i32_e32 v10, 31, v10
	v_xor_b32_e32 v11, vcc_hi, v10
	v_xor_b32_e32 v10, vcc_lo, v10
	v_and_b32_e32 v8, v8, v11
	v_lshlrev_b32_e32 v11, 27, v44
	v_and_b32_e32 v45, v45, v10
	v_mov_b32_e32 v10, v9
	v_not_b32_e32 v9, v11
	v_cmp_gt_i64_e32 vcc, 0, v[10:11]
	v_ashrrev_i32_e32 v9, 31, v9
	ds_read_b32 v42, v46 offset:32
	v_xor_b32_e32 v10, vcc_hi, v9
	v_xor_b32_e32 v11, vcc_lo, v9
	v_and_b32_e32 v9, v8, v10
	v_and_b32_e32 v8, v45, v11
	v_mbcnt_lo_u32_b32 v10, v8, 0
	v_mbcnt_hi_u32_b32 v44, v9, v10
	v_cmp_eq_u32_e32 vcc, 0, v44
	v_cmp_ne_u64_e64 s[0:1], 0, v[8:9]
	s_and_b64 s[4:5], s[0:1], vcc
	; wave barrier
	s_and_saveexec_b64 s[0:1], s[4:5]
	s_cbranch_execz .LBB24_185
; %bb.184:
	v_bcnt_u32_b32 v8, v8, 0
	v_bcnt_u32_b32 v8, v9, v8
	s_waitcnt lgkmcnt(0)
	v_add_u32_e32 v8, v42, v8
	ds_write_b32 v46, v8 offset:32
.LBB24_185:
	s_or_b64 exec, exec, s[0:1]
	s_waitcnt vmcnt(3)
	v_xor_b32_e32 v35, 0x80000000, v35
	v_lshrrev_b32_e32 v8, s68, v35
	v_and_b32_e32 v47, s14, v8
	v_mul_lo_u32 v8, v47, 36
	v_lshl_add_u32 v49, v25, 2, v8
	v_and_b32_e32 v8, 1, v47
	v_mov_b32_e32 v9, 0
	v_lshl_add_u64 v[10:11], v[8:9], 0, -1
	v_cmp_ne_u32_e32 vcc, 0, v8
	; wave barrier
	s_nop 1
	v_xor_b32_e32 v10, vcc_lo, v10
	v_xor_b32_e32 v8, vcc_hi, v11
	v_and_b32_e32 v48, exec_lo, v10
	v_lshlrev_b32_e32 v11, 30, v47
	v_mov_b32_e32 v10, v9
	v_cmp_gt_i64_e32 vcc, 0, v[10:11]
	v_not_b32_e32 v10, v11
	v_ashrrev_i32_e32 v10, 31, v10
	v_and_b32_e32 v8, exec_hi, v8
	v_xor_b32_e32 v11, vcc_hi, v10
	v_xor_b32_e32 v10, vcc_lo, v10
	v_and_b32_e32 v8, v8, v11
	v_and_b32_e32 v48, v48, v10
	v_lshlrev_b32_e32 v11, 29, v47
	v_mov_b32_e32 v10, v9
	v_cmp_gt_i64_e32 vcc, 0, v[10:11]
	v_not_b32_e32 v10, v11
	v_ashrrev_i32_e32 v10, 31, v10
	v_xor_b32_e32 v11, vcc_hi, v10
	v_xor_b32_e32 v10, vcc_lo, v10
	v_and_b32_e32 v8, v8, v11
	v_and_b32_e32 v48, v48, v10
	v_lshlrev_b32_e32 v11, 28, v47
	v_mov_b32_e32 v10, v9
	v_cmp_gt_i64_e32 vcc, 0, v[10:11]
	v_not_b32_e32 v10, v11
	v_ashrrev_i32_e32 v10, 31, v10
	;; [unrolled: 9-line block ×3, first 2 shown]
	v_xor_b32_e32 v11, vcc_hi, v10
	v_xor_b32_e32 v10, vcc_lo, v10
	ds_read_b32 v45, v49 offset:32
	v_and_b32_e32 v10, v48, v10
	v_and_b32_e32 v11, v8, v11
	v_mbcnt_lo_u32_b32 v8, v10, 0
	v_mbcnt_hi_u32_b32 v47, v11, v8
	v_cmp_eq_u32_e32 vcc, 0, v47
	v_cmp_ne_u64_e64 s[0:1], 0, v[10:11]
	s_and_b64 s[4:5], s[0:1], vcc
	; wave barrier
	s_and_saveexec_b64 s[0:1], s[4:5]
	s_cbranch_execz .LBB24_187
; %bb.186:
	v_bcnt_u32_b32 v8, v10, 0
	v_bcnt_u32_b32 v8, v11, v8
	s_waitcnt lgkmcnt(0)
	v_add_u32_e32 v8, v45, v8
	ds_write_b32 v49, v8 offset:32
.LBB24_187:
	s_or_b64 exec, exec, s[0:1]
	s_waitcnt vmcnt(2)
	v_xor_b32_e32 v30, 0x80000000, v30
	v_lshrrev_b32_e32 v8, s68, v30
	v_and_b32_e32 v50, s14, v8
	v_mul_lo_u32 v8, v50, 36
	v_lshl_add_u32 v53, v25, 2, v8
	v_and_b32_e32 v8, 1, v50
	v_lshl_add_u64 v[10:11], v[8:9], 0, -1
	v_cmp_ne_u32_e32 vcc, 0, v8
	; wave barrier
	s_nop 1
	v_xor_b32_e32 v10, vcc_lo, v10
	v_xor_b32_e32 v8, vcc_hi, v11
	v_and_b32_e32 v51, exec_lo, v10
	v_lshlrev_b32_e32 v11, 30, v50
	v_mov_b32_e32 v10, v9
	v_cmp_gt_i64_e32 vcc, 0, v[10:11]
	v_not_b32_e32 v10, v11
	v_ashrrev_i32_e32 v10, 31, v10
	v_and_b32_e32 v8, exec_hi, v8
	v_xor_b32_e32 v11, vcc_hi, v10
	v_xor_b32_e32 v10, vcc_lo, v10
	v_and_b32_e32 v8, v8, v11
	v_and_b32_e32 v51, v51, v10
	v_lshlrev_b32_e32 v11, 29, v50
	v_mov_b32_e32 v10, v9
	v_cmp_gt_i64_e32 vcc, 0, v[10:11]
	v_not_b32_e32 v10, v11
	v_ashrrev_i32_e32 v10, 31, v10
	v_xor_b32_e32 v11, vcc_hi, v10
	v_xor_b32_e32 v10, vcc_lo, v10
	v_and_b32_e32 v8, v8, v11
	v_and_b32_e32 v51, v51, v10
	v_lshlrev_b32_e32 v11, 28, v50
	v_mov_b32_e32 v10, v9
	v_cmp_gt_i64_e32 vcc, 0, v[10:11]
	v_not_b32_e32 v10, v11
	v_ashrrev_i32_e32 v10, 31, v10
	v_xor_b32_e32 v11, vcc_hi, v10
	v_xor_b32_e32 v10, vcc_lo, v10
	v_and_b32_e32 v8, v8, v11
	v_lshlrev_b32_e32 v11, 27, v50
	v_and_b32_e32 v51, v51, v10
	v_mov_b32_e32 v10, v9
	v_not_b32_e32 v9, v11
	v_cmp_gt_i64_e32 vcc, 0, v[10:11]
	v_ashrrev_i32_e32 v9, 31, v9
	ds_read_b32 v48, v53 offset:32
	v_xor_b32_e32 v10, vcc_hi, v9
	v_xor_b32_e32 v11, vcc_lo, v9
	v_and_b32_e32 v9, v8, v10
	v_and_b32_e32 v8, v51, v11
	v_mbcnt_lo_u32_b32 v10, v8, 0
	v_mbcnt_hi_u32_b32 v50, v9, v10
	v_cmp_eq_u32_e32 vcc, 0, v50
	v_cmp_ne_u64_e64 s[0:1], 0, v[8:9]
	s_and_b64 s[4:5], s[0:1], vcc
	; wave barrier
	s_and_saveexec_b64 s[0:1], s[4:5]
	s_cbranch_execz .LBB24_189
; %bb.188:
	v_bcnt_u32_b32 v8, v8, 0
	v_bcnt_u32_b32 v8, v9, v8
	s_waitcnt lgkmcnt(0)
	v_add_u32_e32 v8, v48, v8
	ds_write_b32 v53, v8 offset:32
.LBB24_189:
	s_or_b64 exec, exec, s[0:1]
	s_waitcnt vmcnt(1)
	v_xor_b32_e32 v51, 0x80000000, v24
	v_lshrrev_b32_e32 v8, s68, v51
	v_and_b32_e32 v54, s14, v8
	v_mul_lo_u32 v8, v54, 36
	v_lshl_add_u32 v24, v25, 2, v8
	v_and_b32_e32 v8, 1, v54
	v_mov_b32_e32 v9, 0
	v_lshl_add_u64 v[10:11], v[8:9], 0, -1
	v_cmp_ne_u32_e32 vcc, 0, v8
	; wave barrier
	s_nop 1
	v_xor_b32_e32 v10, vcc_lo, v10
	v_xor_b32_e32 v8, vcc_hi, v11
	v_and_b32_e32 v55, exec_lo, v10
	v_lshlrev_b32_e32 v11, 30, v54
	v_mov_b32_e32 v10, v9
	v_cmp_gt_i64_e32 vcc, 0, v[10:11]
	v_not_b32_e32 v10, v11
	v_ashrrev_i32_e32 v10, 31, v10
	v_and_b32_e32 v8, exec_hi, v8
	v_xor_b32_e32 v11, vcc_hi, v10
	v_xor_b32_e32 v10, vcc_lo, v10
	v_and_b32_e32 v8, v8, v11
	v_and_b32_e32 v55, v55, v10
	v_lshlrev_b32_e32 v11, 29, v54
	v_mov_b32_e32 v10, v9
	v_cmp_gt_i64_e32 vcc, 0, v[10:11]
	v_not_b32_e32 v10, v11
	v_ashrrev_i32_e32 v10, 31, v10
	v_xor_b32_e32 v11, vcc_hi, v10
	v_xor_b32_e32 v10, vcc_lo, v10
	v_and_b32_e32 v8, v8, v11
	v_and_b32_e32 v55, v55, v10
	v_lshlrev_b32_e32 v11, 28, v54
	v_mov_b32_e32 v10, v9
	v_cmp_gt_i64_e32 vcc, 0, v[10:11]
	v_not_b32_e32 v10, v11
	v_ashrrev_i32_e32 v10, 31, v10
	;; [unrolled: 9-line block ×3, first 2 shown]
	v_xor_b32_e32 v11, vcc_hi, v10
	v_xor_b32_e32 v10, vcc_lo, v10
	ds_read_b32 v52, v24 offset:32
	v_and_b32_e32 v10, v55, v10
	v_and_b32_e32 v11, v8, v11
	v_mbcnt_lo_u32_b32 v8, v10, 0
	v_mbcnt_hi_u32_b32 v54, v11, v8
	v_cmp_eq_u32_e32 vcc, 0, v54
	v_cmp_ne_u64_e64 s[0:1], 0, v[10:11]
	s_and_b64 s[4:5], s[0:1], vcc
	; wave barrier
	s_and_saveexec_b64 s[0:1], s[4:5]
	s_cbranch_execz .LBB24_191
; %bb.190:
	v_bcnt_u32_b32 v8, v10, 0
	v_bcnt_u32_b32 v8, v11, v8
	s_waitcnt lgkmcnt(0)
	v_add_u32_e32 v8, v52, v8
	ds_write_b32 v24, v8 offset:32
.LBB24_191:
	s_or_b64 exec, exec, s[0:1]
	s_waitcnt vmcnt(0)
	v_xor_b32_e32 v55, 0x80000000, v19
	v_lshrrev_b32_e32 v8, s68, v55
	v_and_b32_e32 v11, s14, v8
	v_mul_lo_u32 v8, v11, 36
	v_lshl_add_u32 v10, v25, 2, v8
	v_and_b32_e32 v8, 1, v11
	v_lshl_add_u64 v[58:59], v[8:9], 0, -1
	v_cmp_ne_u32_e32 vcc, 0, v8
	; wave barrier
	s_nop 1
	v_xor_b32_e32 v8, vcc_hi, v59
	v_lshlrev_b32_e32 v59, 30, v11
	v_xor_b32_e32 v19, vcc_lo, v58
	v_mov_b32_e32 v58, v9
	v_not_b32_e32 v25, v59
	v_cmp_gt_i64_e32 vcc, 0, v[58:59]
	v_ashrrev_i32_e32 v25, 31, v25
	v_and_b32_e32 v19, exec_lo, v19
	v_xor_b32_e32 v57, vcc_hi, v25
	v_xor_b32_e32 v25, vcc_lo, v25
	v_lshlrev_b32_e32 v59, 29, v11
	v_and_b32_e32 v19, v19, v25
	v_not_b32_e32 v25, v59
	v_and_b32_e32 v8, exec_hi, v8
	v_cmp_gt_i64_e32 vcc, 0, v[58:59]
	v_ashrrev_i32_e32 v25, 31, v25
	v_and_b32_e32 v8, v8, v57
	v_xor_b32_e32 v57, vcc_hi, v25
	v_xor_b32_e32 v25, vcc_lo, v25
	v_lshlrev_b32_e32 v59, 28, v11
	v_and_b32_e32 v19, v19, v25
	v_cmp_gt_i64_e32 vcc, 0, v[58:59]
	v_not_b32_e32 v25, v59
	v_lshlrev_b32_e32 v59, 27, v11
	v_ashrrev_i32_e32 v25, 31, v25
	v_not_b32_e32 v9, v59
	v_and_b32_e32 v8, v8, v57
	v_xor_b32_e32 v57, vcc_hi, v25
	v_xor_b32_e32 v25, vcc_lo, v25
	v_cmp_gt_i64_e32 vcc, 0, v[58:59]
	v_ashrrev_i32_e32 v9, 31, v9
	v_and_b32_e32 v8, v8, v57
	v_and_b32_e32 v19, v19, v25
	v_xor_b32_e32 v11, vcc_hi, v9
	v_xor_b32_e32 v25, vcc_lo, v9
	ds_read_b32 v56, v10 offset:32
	v_and_b32_e32 v9, v8, v11
	v_and_b32_e32 v8, v19, v25
	v_mbcnt_lo_u32_b32 v11, v8, 0
	v_mbcnt_hi_u32_b32 v57, v9, v11
	v_cmp_eq_u32_e32 vcc, 0, v57
	v_cmp_ne_u64_e64 s[0:1], 0, v[8:9]
	s_and_b64 s[4:5], s[0:1], vcc
	; wave barrier
	s_and_saveexec_b64 s[0:1], s[4:5]
	s_cbranch_execz .LBB24_193
; %bb.192:
	v_bcnt_u32_b32 v8, v8, 0
	v_bcnt_u32_b32 v8, v9, v8
	s_waitcnt lgkmcnt(0)
	v_add_u32_e32 v8, v56, v8
	ds_write_b32 v10, v8 offset:32
.LBB24_193:
	s_or_b64 exec, exec, s[0:1]
	; wave barrier
	s_waitcnt lgkmcnt(0)
	s_barrier
	ds_read_b32 v8, v0 offset:32
	v_and_b32_e32 v9, 15, v1
	v_cmp_ne_u32_e32 vcc, 0, v9
	v_min_u32_e32 v7, 0x1c0, v7
	v_or_b32_e32 v7, 63, v7
	s_waitcnt lgkmcnt(0)
	v_mov_b32_dpp v11, v8 row_shr:1 row_mask:0xf bank_mask:0xf
	v_cndmask_b32_e32 v11, 0, v11, vcc
	v_add_u32_e32 v8, v11, v8
	v_cmp_lt_u32_e32 vcc, 1, v9
	s_nop 0
	v_mov_b32_dpp v11, v8 row_shr:2 row_mask:0xf bank_mask:0xf
	v_cndmask_b32_e32 v11, 0, v11, vcc
	v_add_u32_e32 v8, v8, v11
	v_cmp_lt_u32_e32 vcc, 3, v9
	s_nop 0
	;; [unrolled: 5-line block ×3, first 2 shown]
	v_mov_b32_dpp v11, v8 row_shr:8 row_mask:0xf bank_mask:0xf
	v_cndmask_b32_e32 v9, 0, v11, vcc
	v_add_u32_e32 v8, v8, v9
	v_bfe_i32 v11, v1, 4, 1
	v_cmp_lt_u32_e32 vcc, 31, v1
	v_mov_b32_dpp v9, v8 row_bcast:15 row_mask:0xf bank_mask:0xf
	v_and_b32_e32 v9, v11, v9
	v_add_u32_e32 v8, v8, v9
	s_nop 1
	v_mov_b32_dpp v9, v8 row_bcast:31 row_mask:0xf bank_mask:0xf
	v_cndmask_b32_e32 v9, 0, v9, vcc
	v_add_u32_e32 v8, v8, v9
	v_lshrrev_b32_e32 v9, 6, v6
	v_cmp_eq_u32_e32 vcc, v6, v7
	s_and_saveexec_b64 s[0:1], vcc
; %bb.194:
	v_lshlrev_b32_e32 v7, 2, v9
	ds_write_b32 v7, v8
; %bb.195:
	s_or_b64 exec, exec, s[0:1]
	v_cmp_gt_u32_e32 vcc, 8, v6
	s_waitcnt lgkmcnt(0)
	s_barrier
	s_and_saveexec_b64 s[0:1], vcc
	s_cbranch_execz .LBB24_197
; %bb.196:
	ds_read_b32 v7, v0
	v_and_b32_e32 v11, 7, v1
	v_cmp_ne_u32_e32 vcc, 0, v11
	s_waitcnt lgkmcnt(0)
	v_mov_b32_dpp v19, v7 row_shr:1 row_mask:0xf bank_mask:0xf
	v_cndmask_b32_e32 v19, 0, v19, vcc
	v_add_u32_e32 v7, v19, v7
	v_cmp_lt_u32_e32 vcc, 1, v11
	s_nop 0
	v_mov_b32_dpp v19, v7 row_shr:2 row_mask:0xf bank_mask:0xf
	v_cndmask_b32_e32 v19, 0, v19, vcc
	v_add_u32_e32 v7, v7, v19
	v_cmp_lt_u32_e32 vcc, 3, v11
	s_nop 0
	v_mov_b32_dpp v19, v7 row_shr:4 row_mask:0xf bank_mask:0xf
	v_cndmask_b32_e32 v11, 0, v19, vcc
	v_add_u32_e32 v7, v7, v11
	ds_write_b32 v0, v7
.LBB24_197:
	s_or_b64 exec, exec, s[0:1]
	v_cmp_lt_u32_e32 vcc, 63, v6
	v_mov_b32_e32 v7, 0
	s_waitcnt lgkmcnt(0)
	s_barrier
	s_and_saveexec_b64 s[0:1], vcc
; %bb.198:
	v_lshl_add_u32 v7, v9, 2, -4
	ds_read_b32 v7, v7
; %bb.199:
	s_or_b64 exec, exec, s[0:1]
	v_add_u32_e32 v9, -1, v1
	v_and_b32_e32 v11, 64, v1
	v_cmp_lt_i32_e32 vcc, v9, v11
	s_waitcnt lgkmcnt(0)
	v_add_u32_e32 v8, v7, v8
	v_cmp_gt_u32_e64 s[0:1], 32, v6
	v_cndmask_b32_e32 v9, v9, v1, vcc
	v_lshlrev_b32_e32 v9, 2, v9
	ds_bpermute_b32 v8, v9, v8
	v_cmp_eq_u32_e32 vcc, 0, v1
	s_waitcnt lgkmcnt(0)
	s_nop 0
	v_cndmask_b32_e32 v1, v8, v7, vcc
	ds_write_b32 v0, v1 offset:32
	s_waitcnt lgkmcnt(0)
	s_barrier
	ds_read_b32 v11, v14 offset:32
	ds_read_b32 v19, v16 offset:32
	;; [unrolled: 1-line block ×12, first 2 shown]
	v_cmp_lt_u32_e32 vcc, 31, v6
	v_mov_b64_e32 v[8:9], 0
                                        ; implicit-def: $vgpr10
	s_and_saveexec_b64 s[6:7], s[0:1]
	s_cbranch_execz .LBB24_203
; %bb.200:
	v_mul_u32_u24_e32 v8, 36, v6
	ds_read_b32 v8, v8 offset:32
	v_add_u32_e32 v10, 1, v6
	v_cmp_ne_u32_e64 s[4:5], 32, v10
	v_mov_b32_e32 v9, 0x1800
	s_and_saveexec_b64 s[8:9], s[4:5]
; %bb.201:
	v_mul_u32_u24_e32 v9, 36, v10
	ds_read_b32 v9, v9 offset:32
; %bb.202:
	s_or_b64 exec, exec, s[8:9]
	s_waitcnt lgkmcnt(0)
	v_sub_u32_e32 v10, v9, v8
	v_mov_b32_e32 v9, 0
.LBB24_203:
	s_or_b64 exec, exec, s[6:7]
	v_lshlrev_b32_e32 v5, 2, v5
	s_waitcnt lgkmcnt(11)
	v_lshl_add_u32 v11, v11, 2, v5
	s_waitcnt lgkmcnt(0)
	s_barrier
	ds_write_b32 v11, v3 offset:256
	v_lshlrev_b32_e32 v3, 2, v19
	v_lshlrev_b32_e32 v5, 2, v15
	;; [unrolled: 1-line block ×3, first 2 shown]
	v_add3_u32 v19, v3, v5, v13
	ds_write_b32 v19, v12 offset:256
	v_lshlrev_b32_e32 v3, 2, v59
	v_lshlrev_b32_e32 v5, 2, v20
	;; [unrolled: 1-line block ×3, first 2 shown]
	v_add3_u32 v18, v3, v5, v12
	v_lshlrev_b32_e32 v3, 2, v58
	v_lshlrev_b32_e32 v5, 2, v26
	;; [unrolled: 1-line block ×3, first 2 shown]
	v_add3_u32 v20, v3, v5, v12
	v_lshlrev_b32_e32 v3, 2, v33
	v_lshlrev_b32_e32 v5, 2, v31
	v_lshlrev_b32_e32 v12, 2, v29
	ds_write_b32 v18, v17 offset:256
	ds_write_b32 v20, v21 offset:256
	v_add3_u32 v21, v3, v5, v12
	v_lshlrev_b32_e32 v3, 2, v22
	v_lshlrev_b32_e32 v5, 2, v36
	v_lshlrev_b32_e32 v12, 2, v34
	v_add3_u32 v22, v3, v5, v12
	v_lshlrev_b32_e32 v3, 2, v28
	v_lshlrev_b32_e32 v5, 2, v41
	v_lshlrev_b32_e32 v12, 2, v38
	v_add3_u32 v23, v3, v5, v12
	v_lshlrev_b32_e32 v3, 2, v25
	v_lshlrev_b32_e32 v5, 2, v44
	v_lshlrev_b32_e32 v12, 2, v42
	v_add3_u32 v24, v3, v5, v12
	v_lshlrev_b32_e32 v3, 2, v16
	v_lshlrev_b32_e32 v5, 2, v47
	v_lshlrev_b32_e32 v12, 2, v45
	v_add3_u32 v25, v3, v5, v12
	v_lshlrev_b32_e32 v3, 2, v14
	v_lshlrev_b32_e32 v5, 2, v50
	v_lshlrev_b32_e32 v12, 2, v48
	v_add3_u32 v26, v3, v5, v12
	v_lshlrev_b32_e32 v3, 2, v7
	v_lshlrev_b32_e32 v5, 2, v54
	v_lshlrev_b32_e32 v7, 2, v52
	ds_write_b32 v21, v27 offset:256
	v_add3_u32 v27, v3, v5, v7
	v_lshlrev_b32_e32 v1, 2, v1
	v_lshlrev_b32_e32 v3, 2, v57
	v_lshlrev_b32_e32 v5, 2, v56
	v_add3_u32 v28, v1, v3, v5
	v_lshlrev_b32_e32 v7, 3, v6
	ds_write_b32 v22, v32 offset:256
	ds_write_b32 v23, v37 offset:256
	;; [unrolled: 1-line block ×7, first 2 shown]
	s_waitcnt lgkmcnt(0)
	s_barrier
	s_and_saveexec_b64 s[4:5], s[0:1]
	s_cbranch_execz .LBB24_213
; %bb.204:
	v_lshl_add_u32 v14, s2, 5, v6
	v_mov_b32_e32 v15, 0
	v_lshl_add_u64 v[12:13], v[14:15], 2, s[54:55]
	v_or_b32_e32 v1, 2.0, v10
	global_store_dword v[12:13], v1, off sc1
	s_mov_b64 s[6:7], 0
	s_brev_b32 s15, -4
	s_mov_b32 s16, s2
	v_mov_b32_e32 v1, 0
                                        ; implicit-def: $sgpr0_sgpr1
	s_branch .LBB24_207
.LBB24_205:                             ;   in Loop: Header=BB24_207 Depth=1
	s_or_b64 exec, exec, s[12:13]
.LBB24_206:                             ;   in Loop: Header=BB24_207 Depth=1
	s_or_b64 exec, exec, s[8:9]
	v_and_b32_e32 v5, 0x3fffffff, v3
	v_add_u32_e32 v1, v5, v1
	v_cmp_gt_i32_e64 s[0:1], -2.0, v3
	s_and_b64 s[8:9], exec, s[0:1]
	s_or_b64 s[6:7], s[8:9], s[6:7]
	s_andn2_b64 exec, exec, s[6:7]
	s_cbranch_execz .LBB24_212
.LBB24_207:                             ; =>This Loop Header: Depth=1
                                        ;     Child Loop BB24_210 Depth 2
	s_or_b64 s[0:1], s[0:1], exec
	s_cmp_eq_u32 s16, 0
	s_cbranch_scc1 .LBB24_211
; %bb.208:                              ;   in Loop: Header=BB24_207 Depth=1
	s_add_i32 s16, s16, -1
	v_lshl_or_b32 v14, s16, 5, v6
	v_lshl_add_u64 v[16:17], v[14:15], 2, s[54:55]
	global_load_dword v3, v[16:17], off sc1
	s_waitcnt vmcnt(0)
	v_cmp_gt_u32_e64 s[0:1], 2.0, v3
	s_and_saveexec_b64 s[8:9], s[0:1]
	s_cbranch_execz .LBB24_206
; %bb.209:                              ;   in Loop: Header=BB24_207 Depth=1
	s_mov_b64 s[12:13], 0
.LBB24_210:                             ;   Parent Loop BB24_207 Depth=1
                                        ; =>  This Inner Loop Header: Depth=2
	global_load_dword v3, v[16:17], off sc1
	s_waitcnt vmcnt(0)
	v_cmp_lt_u32_e64 s[0:1], s15, v3
	s_or_b64 s[12:13], s[0:1], s[12:13]
	s_andn2_b64 exec, exec, s[12:13]
	s_cbranch_execnz .LBB24_210
	s_branch .LBB24_205
.LBB24_211:                             ;   in Loop: Header=BB24_207 Depth=1
                                        ; implicit-def: $sgpr16
	s_and_b64 s[8:9], exec, s[0:1]
	s_or_b64 s[6:7], s[8:9], s[6:7]
	s_andn2_b64 exec, exec, s[6:7]
	s_cbranch_execnz .LBB24_207
.LBB24_212:
	s_or_b64 exec, exec, s[6:7]
	v_add_u32_e32 v3, v1, v10
	v_or_b32_e32 v3, 0x80000000, v3
	global_store_dword v[12:13], v3, off sc1
	global_load_dwordx2 v[12:13], v7, s[64:65]
	v_sub_co_u32_e64 v14, s[0:1], v1, v8
	s_nop 1
	v_subb_co_u32_e64 v15, s[0:1], 0, v9, s[0:1]
	s_waitcnt vmcnt(0)
	v_lshl_add_u64 v[12:13], v[14:15], 0, v[12:13]
	ds_write_b64 v7, v[12:13]
.LBB24_213:
	s_or_b64 exec, exec, s[4:5]
	v_sub_u32_e32 v6, v7, v0
	s_waitcnt lgkmcnt(0)
	s_barrier
	ds_read2st64_b32 v[12:13], v6 offset0:1 offset1:9
	v_or_b32_e32 v40, 0x2000, v0
	v_or_b32_e32 v48, 0x4000, v0
	s_add_u32 s0, s60, s10
	s_addc_u32 s1, s61, s11
	s_waitcnt lgkmcnt(0)
	v_lshrrev_b32_e32 v1, s68, v12
	v_and_b32_e32 v1, s14, v1
	v_lshlrev_b32_e32 v29, 3, v1
	ds_read2st64_b32 v[14:15], v6 offset0:17 offset1:25
	ds_read_b64 v[16:17], v29
	v_lshrrev_b32_e32 v1, s68, v13
	v_and_b32_e32 v1, s14, v1
	v_lshlrev_b32_e32 v50, 3, v1
	s_waitcnt lgkmcnt(1)
	v_lshrrev_b32_e32 v1, s68, v14
	v_and_b32_e32 v1, s14, v1
	v_lshlrev_b32_e32 v51, 3, v1
	v_lshrrev_b32_e32 v1, s68, v15
	v_and_b32_e32 v1, s14, v1
	v_lshlrev_b32_e32 v52, 3, v1
	ds_read_b64 v[30:31], v50
	ds_read_b64 v[32:33], v51
	;; [unrolled: 1-line block ×3, first 2 shown]
	s_waitcnt lgkmcnt(3)
	v_lshl_add_u64 v[16:17], v[16:17], 2, s[58:59]
	v_mov_b32_e32 v1, 0
	v_xor_b32_e32 v3, 0x80000000, v12
	v_lshl_add_u64 v[16:17], v[16:17], 0, v[0:1]
	global_store_dword v[16:17], v3, off
	v_xor_b32_e32 v3, 0x80000000, v13
	s_waitcnt lgkmcnt(2)
	v_lshl_add_u64 v[12:13], v[30:31], 2, s[58:59]
	v_lshl_add_u64 v[12:13], v[12:13], 0, v[0:1]
	global_store_dword v[12:13], v3, off offset:2048
	s_waitcnt lgkmcnt(1)
	v_lshl_add_u64 v[12:13], v[32:33], 2, s[58:59]
	v_or_b32_e32 v16, 0x1000, v0
	v_mov_b32_e32 v17, v1
	v_xor_b32_e32 v3, 0x80000000, v14
	v_lshl_add_u64 v[12:13], v[12:13], 0, v[16:17]
	global_store_dword v[12:13], v3, off
	v_xor_b32_e32 v3, 0x80000000, v15
	ds_read2st64_b32 v[14:15], v6 offset0:33 offset1:41
	s_waitcnt lgkmcnt(1)
	v_lshl_add_u64 v[12:13], v[34:35], 2, s[58:59]
	v_add_u32_e32 v30, 0x1800, v0
	v_mov_b32_e32 v31, v1
	v_lshl_add_u64 v[12:13], v[12:13], 0, v[30:31]
	global_store_dword v[12:13], v3, off
	s_waitcnt lgkmcnt(0)
	v_lshrrev_b32_e32 v3, s68, v14
	v_and_b32_e32 v3, s14, v3
	v_lshlrev_b32_e32 v53, 3, v3
	ds_read2st64_b32 v[12:13], v6 offset0:49 offset1:57
	ds_read_b64 v[32:33], v53
	v_lshrrev_b32_e32 v3, s68, v15
	v_and_b32_e32 v3, s14, v3
	v_lshlrev_b32_e32 v54, 3, v3
	s_waitcnt lgkmcnt(1)
	v_lshrrev_b32_e32 v3, s68, v12
	v_and_b32_e32 v3, s14, v3
	v_lshlrev_b32_e32 v55, 3, v3
	v_lshrrev_b32_e32 v3, s68, v13
	v_and_b32_e32 v3, s14, v3
	v_lshlrev_b32_e32 v56, 3, v3
	ds_read_b64 v[34:35], v54
	ds_read_b64 v[36:37], v55
	;; [unrolled: 1-line block ×3, first 2 shown]
	s_waitcnt lgkmcnt(3)
	v_lshl_add_u64 v[32:33], v[32:33], 2, s[58:59]
	v_mov_b32_e32 v41, v1
	v_xor_b32_e32 v5, 0x80000000, v14
	v_lshl_add_u64 v[32:33], v[32:33], 0, v[40:41]
	global_store_dword v[32:33], v5, off
	v_xor_b32_e32 v3, 0x80000000, v15
	s_waitcnt lgkmcnt(2)
	v_lshl_add_u64 v[14:15], v[34:35], 2, s[58:59]
	v_add_u32_e32 v32, 0x2800, v0
	v_mov_b32_e32 v33, v1
	v_lshl_add_u64 v[14:15], v[14:15], 0, v[32:33]
	global_store_dword v[14:15], v3, off
	s_waitcnt lgkmcnt(1)
	v_lshl_add_u64 v[14:15], v[36:37], 2, s[58:59]
	v_or_b32_e32 v34, 0x3000, v0
	v_mov_b32_e32 v35, v1
	v_xor_b32_e32 v3, 0x80000000, v12
	v_lshl_add_u64 v[14:15], v[14:15], 0, v[34:35]
	global_store_dword v[14:15], v3, off
	ds_read2st64_b32 v[14:15], v6 offset0:65 offset1:73
	v_xor_b32_e32 v3, 0x80000000, v13
	s_waitcnt lgkmcnt(1)
	v_lshl_add_u64 v[12:13], v[38:39], 2, s[58:59]
	v_add_u32_e32 v36, 0x3800, v0
	v_mov_b32_e32 v37, v1
	v_lshl_add_u64 v[12:13], v[12:13], 0, v[36:37]
	global_store_dword v[12:13], v3, off
	s_waitcnt lgkmcnt(0)
	v_lshrrev_b32_e32 v3, s68, v14
	v_and_b32_e32 v3, s14, v3
	v_lshlrev_b32_e32 v57, 3, v3
	ds_read2st64_b32 v[12:13], v6 offset0:81 offset1:89
	ds_read_b64 v[38:39], v57
	v_lshrrev_b32_e32 v3, s68, v15
	v_and_b32_e32 v3, s14, v3
	v_lshlrev_b32_e32 v58, 3, v3
	s_waitcnt lgkmcnt(1)
	v_lshrrev_b32_e32 v3, s68, v12
	v_and_b32_e32 v3, s14, v3
	v_lshlrev_b32_e32 v59, 3, v3
	v_lshrrev_b32_e32 v3, s68, v13
	v_and_b32_e32 v3, s14, v3
	v_lshlrev_b32_e32 v60, 3, v3
	ds_read_b64 v[42:43], v58
	ds_read_b64 v[44:45], v59
	;; [unrolled: 1-line block ×3, first 2 shown]
	s_waitcnt lgkmcnt(3)
	v_lshl_add_u64 v[38:39], v[38:39], 2, s[58:59]
	v_mov_b32_e32 v49, v1
	v_xor_b32_e32 v5, 0x80000000, v14
	v_lshl_add_u64 v[38:39], v[38:39], 0, v[48:49]
	global_store_dword v[38:39], v5, off
	v_xor_b32_e32 v3, 0x80000000, v15
	s_waitcnt lgkmcnt(2)
	v_lshl_add_u64 v[14:15], v[42:43], 2, s[58:59]
	v_add_u32_e32 v38, 0x4800, v0
	v_mov_b32_e32 v39, v1
	v_lshl_add_u64 v[14:15], v[14:15], 0, v[38:39]
	global_store_dword v[14:15], v3, off
	s_waitcnt lgkmcnt(1)
	v_lshl_add_u64 v[14:15], v[44:45], 2, s[58:59]
	v_or_b32_e32 v42, 0x5000, v0
	v_mov_b32_e32 v43, v1
	v_lshl_add_u64 v[14:15], v[14:15], 0, v[42:43]
	v_xor_b32_e32 v3, 0x80000000, v12
	global_store_dword v[14:15], v3, off
	v_xor_b32_e32 v3, 0x80000000, v13
	s_waitcnt lgkmcnt(0)
	v_lshl_add_u64 v[12:13], v[46:47], 2, s[58:59]
	v_add_u32_e32 v14, 0x5800, v0
	v_mov_b32_e32 v15, v1
	v_lshl_add_u64 v[12:13], v[12:13], 0, v[14:15]
	global_store_dword v[12:13], v3, off
	v_mov_b32_e32 v3, v1
	v_lshl_add_u64 v[2:3], s[0:1], 0, v[2:3]
	v_mov_b32_e32 v5, v1
	v_lshl_add_u64 v[2:3], v[2:3], 0, v[4:5]
	global_load_dword v4, v[2:3], off
	global_load_dword v5, v[2:3], off offset:256
	global_load_dword v12, v[2:3], off offset:512
	;; [unrolled: 1-line block ×11, first 2 shown]
	s_barrier
	s_add_i32 s3, s3, -1
	s_cmp_eq_u32 s2, s3
	s_cselect_b64 s[0:1], -1, 0
	s_xor_b64 s[2:3], vcc, -1
	s_and_b64 s[0:1], s[2:3], s[0:1]
	s_waitcnt vmcnt(11)
	ds_write_b32 v11, v4 offset:256
	s_waitcnt vmcnt(10)
	ds_write_b32 v19, v5 offset:256
	s_waitcnt vmcnt(9)
	ds_write_b32 v18, v12 offset:256
	s_waitcnt vmcnt(8)
	ds_write_b32 v20, v13 offset:256
	s_waitcnt vmcnt(7)
	ds_write_b32 v21, v44 offset:256
	s_waitcnt vmcnt(6)
	ds_write_b32 v22, v45 offset:256
	s_waitcnt vmcnt(5)
	ds_write_b32 v23, v46 offset:256
	s_waitcnt vmcnt(4)
	ds_write_b32 v24, v47 offset:256
	s_waitcnt vmcnt(3)
	ds_write_b32 v25, v61 offset:256
	s_waitcnt vmcnt(2)
	ds_write_b32 v26, v62 offset:256
	s_waitcnt vmcnt(1)
	ds_write_b32 v27, v63 offset:256
	s_waitcnt vmcnt(0)
	ds_write_b32 v28, v64 offset:256
	s_waitcnt lgkmcnt(0)
	s_barrier
	ds_read_b64 v[2:3], v29
	ds_read2st64_b32 v[4:5], v6 offset0:1 offset1:9
	ds_read_b64 v[12:13], v50
	ds_read_b64 v[18:19], v51
	;; [unrolled: 1-line block ×3, first 2 shown]
	s_waitcnt lgkmcnt(4)
	v_lshl_add_u64 v[2:3], v[2:3], 2, s[62:63]
	v_lshl_add_u64 v[2:3], v[2:3], 0, v[0:1]
	s_waitcnt lgkmcnt(3)
	global_store_dword v[2:3], v4, off
	s_waitcnt lgkmcnt(2)
	v_lshl_add_u64 v[2:3], v[12:13], 2, s[62:63]
	ds_read2st64_b32 v[12:13], v6 offset0:17 offset1:25
	v_lshl_add_u64 v[2:3], v[2:3], 0, v[0:1]
	global_store_dword v[2:3], v5, off offset:2048
	s_waitcnt lgkmcnt(2)
	v_lshl_add_u64 v[2:3], v[18:19], 2, s[62:63]
	v_lshl_add_u64 v[2:3], v[2:3], 0, v[16:17]
	s_waitcnt lgkmcnt(0)
	global_store_dword v[2:3], v12, off
	v_lshl_add_u64 v[2:3], v[20:21], 2, s[62:63]
	v_lshl_add_u64 v[2:3], v[2:3], 0, v[30:31]
	global_store_dword v[2:3], v13, off
	ds_read_b64 v[2:3], v53
	ds_read2st64_b32 v[4:5], v6 offset0:33 offset1:41
	ds_read_b64 v[12:13], v54
	ds_read_b64 v[16:17], v55
	;; [unrolled: 1-line block ×3, first 2 shown]
	s_waitcnt lgkmcnt(4)
	v_lshl_add_u64 v[2:3], v[2:3], 2, s[62:63]
	v_lshl_add_u64 v[2:3], v[2:3], 0, v[40:41]
	s_waitcnt lgkmcnt(3)
	global_store_dword v[2:3], v4, off
	s_waitcnt lgkmcnt(2)
	v_lshl_add_u64 v[2:3], v[12:13], 2, s[62:63]
	ds_read2st64_b32 v[12:13], v6 offset0:49 offset1:57
	v_lshl_add_u64 v[2:3], v[2:3], 0, v[32:33]
	global_store_dword v[2:3], v5, off
	s_waitcnt lgkmcnt(2)
	v_lshl_add_u64 v[2:3], v[16:17], 2, s[62:63]
	v_lshl_add_u64 v[2:3], v[2:3], 0, v[34:35]
	s_waitcnt lgkmcnt(0)
	global_store_dword v[2:3], v12, off
	v_lshl_add_u64 v[2:3], v[18:19], 2, s[62:63]
	v_lshl_add_u64 v[2:3], v[2:3], 0, v[36:37]
	global_store_dword v[2:3], v13, off
	ds_read_b64 v[2:3], v57
	ds_read2st64_b32 v[4:5], v6 offset0:65 offset1:73
	ds_read_b64 v[12:13], v58
	ds_read_b64 v[16:17], v59
	;; [unrolled: 1-line block ×3, first 2 shown]
	s_waitcnt lgkmcnt(4)
	v_lshl_add_u64 v[2:3], v[2:3], 2, s[62:63]
	v_lshl_add_u64 v[2:3], v[2:3], 0, v[48:49]
	s_waitcnt lgkmcnt(3)
	global_store_dword v[2:3], v4, off
	s_waitcnt lgkmcnt(2)
	v_lshl_add_u64 v[2:3], v[12:13], 2, s[62:63]
	ds_read2st64_b32 v[12:13], v6 offset0:81 offset1:89
	v_lshl_add_u64 v[2:3], v[2:3], 0, v[38:39]
	global_store_dword v[2:3], v5, off
	s_waitcnt lgkmcnt(2)
	v_lshl_add_u64 v[2:3], v[16:17], 2, s[62:63]
	v_lshl_add_u64 v[2:3], v[2:3], 0, v[42:43]
	s_waitcnt lgkmcnt(0)
	global_store_dword v[2:3], v12, off
	v_lshl_add_u64 v[2:3], v[18:19], 2, s[62:63]
	v_lshl_add_u64 v[2:3], v[2:3], 0, v[14:15]
	global_store_dword v[2:3], v13, off
	s_and_saveexec_b64 s[2:3], s[0:1]
	s_cbranch_execz .LBB24_215
; %bb.214:
	ds_read_b64 v[2:3], v7
	v_mov_b32_e32 v11, v1
	v_lshl_add_u64 v[0:1], v[8:9], 0, v[10:11]
	s_waitcnt lgkmcnt(0)
	v_lshl_add_u64 v[0:1], v[0:1], 0, v[2:3]
	global_store_dwordx2 v7, v[0:1], s[66:67]
.LBB24_215:
	s_endpgm
	.section	.rodata,"a",@progbits
	.p2align	6, 0x0
	.amdhsa_kernel _ZN7rocprim17ROCPRIM_304000_NS6detail25onesweep_iteration_kernelINS1_34wrapped_radix_sort_onesweep_configINS0_14default_configEiN2at4cuda3cub6detail10OpaqueTypeILi4EEEEELb0EPKiPiPKSA_PSA_mNS0_19identity_decomposerEEEvT1_T2_T3_T4_jPT5_SO_PNS1_23onesweep_lookback_stateET6_jjj
		.amdhsa_group_segment_fixed_size 24832
		.amdhsa_private_segment_fixed_size 0
		.amdhsa_kernarg_size 336
		.amdhsa_user_sgpr_count 2
		.amdhsa_user_sgpr_dispatch_ptr 0
		.amdhsa_user_sgpr_queue_ptr 0
		.amdhsa_user_sgpr_kernarg_segment_ptr 1
		.amdhsa_user_sgpr_dispatch_id 0
		.amdhsa_user_sgpr_kernarg_preload_length 0
		.amdhsa_user_sgpr_kernarg_preload_offset 0
		.amdhsa_user_sgpr_private_segment_size 0
		.amdhsa_uses_dynamic_stack 0
		.amdhsa_enable_private_segment 0
		.amdhsa_system_sgpr_workgroup_id_x 1
		.amdhsa_system_sgpr_workgroup_id_y 0
		.amdhsa_system_sgpr_workgroup_id_z 0
		.amdhsa_system_sgpr_workgroup_info 0
		.amdhsa_system_vgpr_workitem_id 2
		.amdhsa_next_free_vgpr 65
		.amdhsa_next_free_sgpr 76
		.amdhsa_accum_offset 68
		.amdhsa_reserve_vcc 1
		.amdhsa_float_round_mode_32 0
		.amdhsa_float_round_mode_16_64 0
		.amdhsa_float_denorm_mode_32 3
		.amdhsa_float_denorm_mode_16_64 3
		.amdhsa_dx10_clamp 1
		.amdhsa_ieee_mode 1
		.amdhsa_fp16_overflow 0
		.amdhsa_tg_split 0
		.amdhsa_exception_fp_ieee_invalid_op 0
		.amdhsa_exception_fp_denorm_src 0
		.amdhsa_exception_fp_ieee_div_zero 0
		.amdhsa_exception_fp_ieee_overflow 0
		.amdhsa_exception_fp_ieee_underflow 0
		.amdhsa_exception_fp_ieee_inexact 0
		.amdhsa_exception_int_div_zero 0
	.end_amdhsa_kernel
	.section	.text._ZN7rocprim17ROCPRIM_304000_NS6detail25onesweep_iteration_kernelINS1_34wrapped_radix_sort_onesweep_configINS0_14default_configEiN2at4cuda3cub6detail10OpaqueTypeILi4EEEEELb0EPKiPiPKSA_PSA_mNS0_19identity_decomposerEEEvT1_T2_T3_T4_jPT5_SO_PNS1_23onesweep_lookback_stateET6_jjj,"axG",@progbits,_ZN7rocprim17ROCPRIM_304000_NS6detail25onesweep_iteration_kernelINS1_34wrapped_radix_sort_onesweep_configINS0_14default_configEiN2at4cuda3cub6detail10OpaqueTypeILi4EEEEELb0EPKiPiPKSA_PSA_mNS0_19identity_decomposerEEEvT1_T2_T3_T4_jPT5_SO_PNS1_23onesweep_lookback_stateET6_jjj,comdat
.Lfunc_end24:
	.size	_ZN7rocprim17ROCPRIM_304000_NS6detail25onesweep_iteration_kernelINS1_34wrapped_radix_sort_onesweep_configINS0_14default_configEiN2at4cuda3cub6detail10OpaqueTypeILi4EEEEELb0EPKiPiPKSA_PSA_mNS0_19identity_decomposerEEEvT1_T2_T3_T4_jPT5_SO_PNS1_23onesweep_lookback_stateET6_jjj, .Lfunc_end24-_ZN7rocprim17ROCPRIM_304000_NS6detail25onesweep_iteration_kernelINS1_34wrapped_radix_sort_onesweep_configINS0_14default_configEiN2at4cuda3cub6detail10OpaqueTypeILi4EEEEELb0EPKiPiPKSA_PSA_mNS0_19identity_decomposerEEEvT1_T2_T3_T4_jPT5_SO_PNS1_23onesweep_lookback_stateET6_jjj
                                        ; -- End function
	.set _ZN7rocprim17ROCPRIM_304000_NS6detail25onesweep_iteration_kernelINS1_34wrapped_radix_sort_onesweep_configINS0_14default_configEiN2at4cuda3cub6detail10OpaqueTypeILi4EEEEELb0EPKiPiPKSA_PSA_mNS0_19identity_decomposerEEEvT1_T2_T3_T4_jPT5_SO_PNS1_23onesweep_lookback_stateET6_jjj.num_vgpr, 65
	.set _ZN7rocprim17ROCPRIM_304000_NS6detail25onesweep_iteration_kernelINS1_34wrapped_radix_sort_onesweep_configINS0_14default_configEiN2at4cuda3cub6detail10OpaqueTypeILi4EEEEELb0EPKiPiPKSA_PSA_mNS0_19identity_decomposerEEEvT1_T2_T3_T4_jPT5_SO_PNS1_23onesweep_lookback_stateET6_jjj.num_agpr, 0
	.set _ZN7rocprim17ROCPRIM_304000_NS6detail25onesweep_iteration_kernelINS1_34wrapped_radix_sort_onesweep_configINS0_14default_configEiN2at4cuda3cub6detail10OpaqueTypeILi4EEEEELb0EPKiPiPKSA_PSA_mNS0_19identity_decomposerEEEvT1_T2_T3_T4_jPT5_SO_PNS1_23onesweep_lookback_stateET6_jjj.numbered_sgpr, 76
	.set _ZN7rocprim17ROCPRIM_304000_NS6detail25onesweep_iteration_kernelINS1_34wrapped_radix_sort_onesweep_configINS0_14default_configEiN2at4cuda3cub6detail10OpaqueTypeILi4EEEEELb0EPKiPiPKSA_PSA_mNS0_19identity_decomposerEEEvT1_T2_T3_T4_jPT5_SO_PNS1_23onesweep_lookback_stateET6_jjj.num_named_barrier, 0
	.set _ZN7rocprim17ROCPRIM_304000_NS6detail25onesweep_iteration_kernelINS1_34wrapped_radix_sort_onesweep_configINS0_14default_configEiN2at4cuda3cub6detail10OpaqueTypeILi4EEEEELb0EPKiPiPKSA_PSA_mNS0_19identity_decomposerEEEvT1_T2_T3_T4_jPT5_SO_PNS1_23onesweep_lookback_stateET6_jjj.private_seg_size, 0
	.set _ZN7rocprim17ROCPRIM_304000_NS6detail25onesweep_iteration_kernelINS1_34wrapped_radix_sort_onesweep_configINS0_14default_configEiN2at4cuda3cub6detail10OpaqueTypeILi4EEEEELb0EPKiPiPKSA_PSA_mNS0_19identity_decomposerEEEvT1_T2_T3_T4_jPT5_SO_PNS1_23onesweep_lookback_stateET6_jjj.uses_vcc, 1
	.set _ZN7rocprim17ROCPRIM_304000_NS6detail25onesweep_iteration_kernelINS1_34wrapped_radix_sort_onesweep_configINS0_14default_configEiN2at4cuda3cub6detail10OpaqueTypeILi4EEEEELb0EPKiPiPKSA_PSA_mNS0_19identity_decomposerEEEvT1_T2_T3_T4_jPT5_SO_PNS1_23onesweep_lookback_stateET6_jjj.uses_flat_scratch, 0
	.set _ZN7rocprim17ROCPRIM_304000_NS6detail25onesweep_iteration_kernelINS1_34wrapped_radix_sort_onesweep_configINS0_14default_configEiN2at4cuda3cub6detail10OpaqueTypeILi4EEEEELb0EPKiPiPKSA_PSA_mNS0_19identity_decomposerEEEvT1_T2_T3_T4_jPT5_SO_PNS1_23onesweep_lookback_stateET6_jjj.has_dyn_sized_stack, 0
	.set _ZN7rocprim17ROCPRIM_304000_NS6detail25onesweep_iteration_kernelINS1_34wrapped_radix_sort_onesweep_configINS0_14default_configEiN2at4cuda3cub6detail10OpaqueTypeILi4EEEEELb0EPKiPiPKSA_PSA_mNS0_19identity_decomposerEEEvT1_T2_T3_T4_jPT5_SO_PNS1_23onesweep_lookback_stateET6_jjj.has_recursion, 0
	.set _ZN7rocprim17ROCPRIM_304000_NS6detail25onesweep_iteration_kernelINS1_34wrapped_radix_sort_onesweep_configINS0_14default_configEiN2at4cuda3cub6detail10OpaqueTypeILi4EEEEELb0EPKiPiPKSA_PSA_mNS0_19identity_decomposerEEEvT1_T2_T3_T4_jPT5_SO_PNS1_23onesweep_lookback_stateET6_jjj.has_indirect_call, 0
	.section	.AMDGPU.csdata,"",@progbits
; Kernel info:
; codeLenInByte = 16176
; TotalNumSgprs: 82
; NumVgprs: 65
; NumAgprs: 0
; TotalNumVgprs: 65
; ScratchSize: 0
; MemoryBound: 0
; FloatMode: 240
; IeeeMode: 1
; LDSByteSize: 24832 bytes/workgroup (compile time only)
; SGPRBlocks: 10
; VGPRBlocks: 8
; NumSGPRsForWavesPerEU: 82
; NumVGPRsForWavesPerEU: 65
; AccumOffset: 68
; Occupancy: 7
; WaveLimiterHint : 1
; COMPUTE_PGM_RSRC2:SCRATCH_EN: 0
; COMPUTE_PGM_RSRC2:USER_SGPR: 2
; COMPUTE_PGM_RSRC2:TRAP_HANDLER: 0
; COMPUTE_PGM_RSRC2:TGID_X_EN: 1
; COMPUTE_PGM_RSRC2:TGID_Y_EN: 0
; COMPUTE_PGM_RSRC2:TGID_Z_EN: 0
; COMPUTE_PGM_RSRC2:TIDIG_COMP_CNT: 2
; COMPUTE_PGM_RSRC3_GFX90A:ACCUM_OFFSET: 16
; COMPUTE_PGM_RSRC3_GFX90A:TG_SPLIT: 0
	.section	.text._ZN7rocprim17ROCPRIM_304000_NS6detail25onesweep_iteration_kernelINS1_34wrapped_radix_sort_onesweep_configINS0_14default_configEiN2at4cuda3cub6detail10OpaqueTypeILi4EEEEELb0EPiSC_PSA_SD_mNS0_19identity_decomposerEEEvT1_T2_T3_T4_jPT5_SK_PNS1_23onesweep_lookback_stateET6_jjj,"axG",@progbits,_ZN7rocprim17ROCPRIM_304000_NS6detail25onesweep_iteration_kernelINS1_34wrapped_radix_sort_onesweep_configINS0_14default_configEiN2at4cuda3cub6detail10OpaqueTypeILi4EEEEELb0EPiSC_PSA_SD_mNS0_19identity_decomposerEEEvT1_T2_T3_T4_jPT5_SK_PNS1_23onesweep_lookback_stateET6_jjj,comdat
	.protected	_ZN7rocprim17ROCPRIM_304000_NS6detail25onesweep_iteration_kernelINS1_34wrapped_radix_sort_onesweep_configINS0_14default_configEiN2at4cuda3cub6detail10OpaqueTypeILi4EEEEELb0EPiSC_PSA_SD_mNS0_19identity_decomposerEEEvT1_T2_T3_T4_jPT5_SK_PNS1_23onesweep_lookback_stateET6_jjj ; -- Begin function _ZN7rocprim17ROCPRIM_304000_NS6detail25onesweep_iteration_kernelINS1_34wrapped_radix_sort_onesweep_configINS0_14default_configEiN2at4cuda3cub6detail10OpaqueTypeILi4EEEEELb0EPiSC_PSA_SD_mNS0_19identity_decomposerEEEvT1_T2_T3_T4_jPT5_SK_PNS1_23onesweep_lookback_stateET6_jjj
	.globl	_ZN7rocprim17ROCPRIM_304000_NS6detail25onesweep_iteration_kernelINS1_34wrapped_radix_sort_onesweep_configINS0_14default_configEiN2at4cuda3cub6detail10OpaqueTypeILi4EEEEELb0EPiSC_PSA_SD_mNS0_19identity_decomposerEEEvT1_T2_T3_T4_jPT5_SK_PNS1_23onesweep_lookback_stateET6_jjj
	.p2align	8
	.type	_ZN7rocprim17ROCPRIM_304000_NS6detail25onesweep_iteration_kernelINS1_34wrapped_radix_sort_onesweep_configINS0_14default_configEiN2at4cuda3cub6detail10OpaqueTypeILi4EEEEELb0EPiSC_PSA_SD_mNS0_19identity_decomposerEEEvT1_T2_T3_T4_jPT5_SK_PNS1_23onesweep_lookback_stateET6_jjj,@function
_ZN7rocprim17ROCPRIM_304000_NS6detail25onesweep_iteration_kernelINS1_34wrapped_radix_sort_onesweep_configINS0_14default_configEiN2at4cuda3cub6detail10OpaqueTypeILi4EEEEELb0EPiSC_PSA_SD_mNS0_19identity_decomposerEEEvT1_T2_T3_T4_jPT5_SK_PNS1_23onesweep_lookback_stateET6_jjj: ; @_ZN7rocprim17ROCPRIM_304000_NS6detail25onesweep_iteration_kernelINS1_34wrapped_radix_sort_onesweep_configINS0_14default_configEiN2at4cuda3cub6detail10OpaqueTypeILi4EEEEELb0EPiSC_PSA_SD_mNS0_19identity_decomposerEEEvT1_T2_T3_T4_jPT5_SK_PNS1_23onesweep_lookback_stateET6_jjj
; %bb.0:
	s_load_dwordx4 s[68:71], s[0:1], 0x44
	s_load_dwordx8 s[56:63], s[0:1], 0x0
	s_load_dwordx4 s[64:67], s[0:1], 0x28
	s_load_dwordx2 s[54:55], s[0:1], 0x38
	s_mov_b64 s[4:5], -1
	s_waitcnt lgkmcnt(0)
	s_cmp_ge_u32 s2, s70
	s_mul_i32 s72, s2, 0x1800
	v_mbcnt_lo_u32_b32 v1, -1, 0
	s_cbranch_scc0 .LBB25_168
; %bb.1:
	s_load_dword s3, s[0:1], 0x20
	s_mul_i32 s4, s70, 0xffffe800
	s_mov_b32 s73, 0
	s_lshl_b64 s[70:71], s[72:73], 2
	v_mbcnt_hi_u32_b32 v15, -1, v1
	s_waitcnt lgkmcnt(0)
	s_add_i32 s73, s4, s3
	s_add_u32 s4, s56, s70
	v_and_b32_e32 v24, 0x1c0, v0
	s_addc_u32 s5, s57, s71
	v_mul_u32_u24_e32 v8, 12, v24
	v_mov_b32_e32 v5, 0
	v_lshlrev_b32_e32 v4, 2, v15
	v_lshl_add_u64 v[2:3], s[4:5], 0, v[4:5]
	v_lshlrev_b32_e32 v6, 2, v8
	v_mov_b32_e32 v7, v5
	v_or_b32_e32 v10, v15, v8
	v_mov_b32_e32 v9, -1
	v_lshl_add_u64 v[2:3], v[2:3], 0, v[6:7]
	v_cmp_gt_u32_e32 vcc, s73, v10
	v_mov_b32_e32 v5, -1
	s_and_saveexec_b64 s[4:5], vcc
	s_cbranch_execz .LBB25_3
; %bb.2:
	global_load_dword v5, v[2:3], off
	s_waitcnt vmcnt(0)
	v_xor_b32_e32 v5, 0x80000000, v5
.LBB25_3:
	s_or_b64 exec, exec, s[4:5]
	v_add_u32_e32 v7, 64, v10
	v_cmp_gt_u32_e64 s[52:53], s73, v7
	s_and_saveexec_b64 s[4:5], s[52:53]
	s_cbranch_execz .LBB25_5
; %bb.4:
	global_load_dword v7, v[2:3], off offset:256
	s_waitcnt vmcnt(0)
	v_xor_b32_e32 v9, 0x80000000, v7
.LBB25_5:
	s_or_b64 exec, exec, s[4:5]
	v_add_u32_e32 v7, 0x80, v10
	v_cmp_gt_u32_e64 s[4:5], s73, v7
	v_mov_b32_e32 v7, -1
	v_mov_b32_e32 v14, -1
	s_and_saveexec_b64 s[6:7], s[4:5]
	s_cbranch_execz .LBB25_7
; %bb.6:
	global_load_dword v8, v[2:3], off offset:512
	s_waitcnt vmcnt(0)
	v_xor_b32_e32 v14, 0x80000000, v8
.LBB25_7:
	s_or_b64 exec, exec, s[6:7]
	v_add_u32_e32 v8, 0xc0, v10
	v_cmp_gt_u32_e64 s[6:7], s73, v8
	s_and_saveexec_b64 s[8:9], s[6:7]
	s_cbranch_execz .LBB25_9
; %bb.8:
	global_load_dword v7, v[2:3], off offset:768
	s_waitcnt vmcnt(0)
	v_xor_b32_e32 v7, 0x80000000, v7
.LBB25_9:
	s_or_b64 exec, exec, s[8:9]
	v_add_u32_e32 v8, 0x100, v10
	v_cmp_gt_u32_e64 s[8:9], s73, v8
	v_mov_b32_e32 v16, -1
	v_mov_b32_e32 v17, -1
	s_and_saveexec_b64 s[10:11], s[8:9]
	s_cbranch_execz .LBB25_11
; %bb.10:
	global_load_dword v8, v[2:3], off offset:1024
	s_waitcnt vmcnt(0)
	v_xor_b32_e32 v17, 0x80000000, v8
.LBB25_11:
	s_or_b64 exec, exec, s[10:11]
	v_add_u32_e32 v8, 0x140, v10
	v_cmp_gt_u32_e64 s[10:11], s73, v8
	s_and_saveexec_b64 s[12:13], s[10:11]
	s_cbranch_execz .LBB25_13
; %bb.12:
	global_load_dword v8, v[2:3], off offset:1280
	s_waitcnt vmcnt(0)
	v_xor_b32_e32 v16, 0x80000000, v8
.LBB25_13:
	s_or_b64 exec, exec, s[12:13]
	v_add_u32_e32 v8, 0x180, v10
	v_cmp_gt_u32_e64 s[12:13], s73, v8
	v_mov_b32_e32 v18, -1
	v_mov_b32_e32 v19, -1
	s_and_saveexec_b64 s[14:15], s[12:13]
	s_cbranch_execz .LBB25_15
; %bb.14:
	global_load_dword v8, v[2:3], off offset:1536
	s_waitcnt vmcnt(0)
	v_xor_b32_e32 v19, 0x80000000, v8
.LBB25_15:
	s_or_b64 exec, exec, s[14:15]
	v_add_u32_e32 v8, 0x1c0, v10
	v_cmp_gt_u32_e64 s[14:15], s73, v8
	s_and_saveexec_b64 s[16:17], s[14:15]
	s_cbranch_execz .LBB25_17
; %bb.16:
	global_load_dword v8, v[2:3], off offset:1792
	s_waitcnt vmcnt(0)
	v_xor_b32_e32 v18, 0x80000000, v8
.LBB25_17:
	s_or_b64 exec, exec, s[16:17]
	v_add_u32_e32 v8, 0x200, v10
	v_cmp_gt_u32_e64 s[16:17], s73, v8
	v_mov_b32_e32 v20, -1
	v_mov_b32_e32 v21, -1
	s_and_saveexec_b64 s[18:19], s[16:17]
	s_cbranch_execz .LBB25_19
; %bb.18:
	global_load_dword v8, v[2:3], off offset:2048
	s_waitcnt vmcnt(0)
	v_xor_b32_e32 v21, 0x80000000, v8
.LBB25_19:
	s_or_b64 exec, exec, s[18:19]
	v_add_u32_e32 v8, 0x240, v10
	v_cmp_gt_u32_e64 s[18:19], s73, v8
	s_and_saveexec_b64 s[20:21], s[18:19]
	s_cbranch_execz .LBB25_21
; %bb.20:
	global_load_dword v8, v[2:3], off offset:2304
	s_waitcnt vmcnt(0)
	v_xor_b32_e32 v20, 0x80000000, v8
.LBB25_21:
	s_or_b64 exec, exec, s[20:21]
	v_add_u32_e32 v8, 0x280, v10
	v_cmp_gt_u32_e64 s[20:21], s73, v8
	v_mov_b32_e32 v22, -1
	v_mov_b32_e32 v23, -1
	s_and_saveexec_b64 s[22:23], s[20:21]
	s_cbranch_execz .LBB25_23
; %bb.22:
	global_load_dword v8, v[2:3], off offset:2560
	s_waitcnt vmcnt(0)
	v_xor_b32_e32 v23, 0x80000000, v8
.LBB25_23:
	s_or_b64 exec, exec, s[22:23]
	v_add_u32_e32 v10, 0x2c0, v10
	v_and_b32_e32 v8, 0x3ff, v0
	v_cmp_gt_u32_e64 s[22:23], s73, v10
	s_and_saveexec_b64 s[24:25], s[22:23]
	s_cbranch_execz .LBB25_25
; %bb.24:
	global_load_dword v2, v[2:3], off offset:2816
	s_waitcnt vmcnt(0)
	v_xor_b32_e32 v22, 0x80000000, v2
.LBB25_25:
	s_or_b64 exec, exec, s[24:25]
	s_load_dword s24, s[0:1], 0x5c
	s_load_dword s3, s[0:1], 0x50
	s_add_u32 s25, s0, 0x50
	s_addc_u32 s26, s1, 0
	v_mov_b32_e32 v11, 0
	s_waitcnt lgkmcnt(0)
	s_lshr_b32 s27, s24, 16
	s_cmp_lt_u32 s2, s3
	s_cselect_b32 s24, 12, 18
	s_add_u32 s24, s25, s24
	s_addc_u32 s25, s26, 0
	global_load_ushort v25, v11, s[24:25]
	v_bfe_u32 v3, v0, 10, 10
	v_bfe_u32 v10, v0, 20, 10
	v_lshrrev_b32_e32 v13, s68, v5
	s_lshl_b32 s24, -1, s69
	v_mad_u32_u24 v34, v10, s27, v3
	v_bitop3_b32 v3, v13, s24, v13 bitop3:0x30
	v_and_b32_e32 v10, 1, v3
	v_lshlrev_b32_e32 v13, 30, v3
	v_mov_b32_e32 v12, v11
	v_mov_b32_e32 v26, v11
	s_not_b32 s33, s24
	v_mul_lo_u32 v35, v3, 36
	v_lshlrev_b32_e32 v27, 29, v3
	v_lshlrev_b32_e32 v29, 28, v3
	;; [unrolled: 1-line block ×3, first 2 shown]
	v_lshl_add_u64 v[32:33], v[10:11], 0, -1
	v_cmp_ne_u32_e64 s[24:25], 0, v10
	v_not_b32_e32 v3, v13
	v_mov_b32_e32 v28, v11
	v_cmp_gt_i64_e64 s[26:27], 0, v[12:13]
	v_cmp_gt_i64_e64 s[28:29], 0, v[26:27]
	v_not_b32_e32 v10, v27
	v_xor_b32_e32 v27, s24, v32
	v_ashrrev_i32_e32 v3, 31, v3
	v_mov_b32_e32 v30, v11
	v_cmp_gt_i64_e64 s[30:31], 0, v[28:29]
	v_not_b32_e32 v12, v29
	v_not_b32_e32 v13, v31
	v_xor_b32_e32 v26, s25, v33
	v_ashrrev_i32_e32 v10, 31, v10
	v_and_b32_e32 v27, exec_lo, v27
	v_xor_b32_e32 v28, s27, v3
	v_xor_b32_e32 v3, s26, v3
	v_cmp_gt_i64_e64 s[34:35], 0, v[30:31]
	v_ashrrev_i32_e32 v12, 31, v12
	v_ashrrev_i32_e32 v13, 31, v13
	v_and_b32_e32 v26, exec_hi, v26
	v_xor_b32_e32 v29, s29, v10
	v_xor_b32_e32 v10, s28, v10
	v_and_b32_e32 v3, v27, v3
	v_xor_b32_e32 v30, s31, v12
	v_xor_b32_e32 v12, s30, v12
	;; [unrolled: 1-line block ×4, first 2 shown]
	v_and_b32_e32 v13, v26, v28
	v_and_b32_e32 v3, v3, v10
	;; [unrolled: 1-line block ×7, first 2 shown]
	v_mbcnt_lo_u32_b32 v3, v12, 0
	v_mbcnt_hi_u32_b32 v3, v13, v3
	v_cmp_ne_u64_e64 s[24:25], 0, v[12:13]
	v_cmp_eq_u32_e64 s[26:27], 0, v3
	v_lshlrev_b32_e32 v2, 2, v8
	s_and_b64 s[26:27], s[24:25], s[26:27]
	ds_write_b32 v2, v11 offset:32
	s_waitcnt lgkmcnt(0)
	s_barrier
	s_waitcnt vmcnt(0)
	; wave barrier
	v_mad_u64_u32 v[26:27], s[28:29], v34, v25, v[8:9]
	v_lshrrev_b32_e32 v34, 6, v26
	v_lshl_add_u32 v26, v34, 2, v35
	s_and_saveexec_b64 s[24:25], s[26:27]
; %bb.26:
	v_bcnt_u32_b32 v10, v12, 0
	v_bcnt_u32_b32 v10, v13, v10
	ds_write_b32 v26, v10 offset:32
; %bb.27:
	s_or_b64 exec, exec, s[24:25]
	v_lshrrev_b32_e32 v10, s68, v9
	v_and_b32_e32 v27, s33, v10
	v_mul_lo_u32 v10, v27, 36
	v_lshl_add_u32 v28, v34, 2, v10
	v_and_b32_e32 v10, 1, v27
	v_lshl_add_u64 v[12:13], v[10:11], 0, -1
	v_cmp_ne_u32_e64 s[24:25], 0, v10
	; wave barrier
	s_nop 1
	v_xor_b32_e32 v12, s24, v12
	v_xor_b32_e32 v10, s25, v13
	v_and_b32_e32 v29, exec_lo, v12
	v_lshlrev_b32_e32 v13, 30, v27
	v_mov_b32_e32 v12, v11
	v_cmp_gt_i64_e64 s[24:25], 0, v[12:13]
	v_not_b32_e32 v12, v13
	v_ashrrev_i32_e32 v12, 31, v12
	v_and_b32_e32 v10, exec_hi, v10
	v_xor_b32_e32 v13, s25, v12
	v_xor_b32_e32 v12, s24, v12
	v_and_b32_e32 v10, v10, v13
	v_and_b32_e32 v29, v29, v12
	v_lshlrev_b32_e32 v13, 29, v27
	v_mov_b32_e32 v12, v11
	v_cmp_gt_i64_e64 s[24:25], 0, v[12:13]
	v_not_b32_e32 v12, v13
	v_ashrrev_i32_e32 v12, 31, v12
	v_xor_b32_e32 v13, s25, v12
	v_xor_b32_e32 v12, s24, v12
	v_and_b32_e32 v10, v10, v13
	v_and_b32_e32 v29, v29, v12
	v_lshlrev_b32_e32 v13, 28, v27
	v_mov_b32_e32 v12, v11
	v_cmp_gt_i64_e64 s[24:25], 0, v[12:13]
	v_not_b32_e32 v12, v13
	v_ashrrev_i32_e32 v12, 31, v12
	v_xor_b32_e32 v13, s25, v12
	v_xor_b32_e32 v12, s24, v12
	v_and_b32_e32 v10, v10, v13
	v_lshlrev_b32_e32 v13, 27, v27
	v_and_b32_e32 v29, v29, v12
	v_mov_b32_e32 v12, v11
	v_not_b32_e32 v11, v13
	v_cmp_gt_i64_e64 s[24:25], 0, v[12:13]
	v_ashrrev_i32_e32 v11, 31, v11
	ds_read_b32 v25, v28 offset:32
	v_xor_b32_e32 v12, s25, v11
	v_xor_b32_e32 v13, s24, v11
	v_and_b32_e32 v11, v10, v12
	v_and_b32_e32 v10, v29, v13
	v_mbcnt_lo_u32_b32 v12, v10, 0
	v_mbcnt_hi_u32_b32 v27, v11, v12
	v_cmp_eq_u32_e64 s[24:25], 0, v27
	v_cmp_ne_u64_e64 s[26:27], 0, v[10:11]
	s_and_b64 s[26:27], s[26:27], s[24:25]
	; wave barrier
	s_and_saveexec_b64 s[24:25], s[26:27]
	s_cbranch_execz .LBB25_29
; %bb.28:
	v_bcnt_u32_b32 v10, v10, 0
	v_bcnt_u32_b32 v10, v11, v10
	s_waitcnt lgkmcnt(0)
	v_add_u32_e32 v10, v25, v10
	ds_write_b32 v28, v10 offset:32
.LBB25_29:
	s_or_b64 exec, exec, s[24:25]
	v_lshrrev_b32_e32 v10, s68, v14
	v_and_b32_e32 v30, s33, v10
	v_mul_lo_u32 v10, v30, 36
	v_lshl_add_u32 v31, v34, 2, v10
	v_and_b32_e32 v10, 1, v30
	v_mov_b32_e32 v11, 0
	v_lshl_add_u64 v[12:13], v[10:11], 0, -1
	v_cmp_ne_u32_e64 s[24:25], 0, v10
	; wave barrier
	s_nop 1
	v_xor_b32_e32 v12, s24, v12
	v_xor_b32_e32 v10, s25, v13
	v_and_b32_e32 v32, exec_lo, v12
	v_lshlrev_b32_e32 v13, 30, v30
	v_mov_b32_e32 v12, v11
	v_cmp_gt_i64_e64 s[24:25], 0, v[12:13]
	v_not_b32_e32 v12, v13
	v_ashrrev_i32_e32 v12, 31, v12
	v_and_b32_e32 v10, exec_hi, v10
	v_xor_b32_e32 v13, s25, v12
	v_xor_b32_e32 v12, s24, v12
	v_and_b32_e32 v10, v10, v13
	v_and_b32_e32 v32, v32, v12
	v_lshlrev_b32_e32 v13, 29, v30
	v_mov_b32_e32 v12, v11
	v_cmp_gt_i64_e64 s[24:25], 0, v[12:13]
	v_not_b32_e32 v12, v13
	v_ashrrev_i32_e32 v12, 31, v12
	v_xor_b32_e32 v13, s25, v12
	v_xor_b32_e32 v12, s24, v12
	v_and_b32_e32 v10, v10, v13
	v_and_b32_e32 v32, v32, v12
	v_lshlrev_b32_e32 v13, 28, v30
	v_mov_b32_e32 v12, v11
	v_cmp_gt_i64_e64 s[24:25], 0, v[12:13]
	v_not_b32_e32 v12, v13
	v_ashrrev_i32_e32 v12, 31, v12
	;; [unrolled: 9-line block ×3, first 2 shown]
	v_xor_b32_e32 v13, s25, v12
	v_xor_b32_e32 v12, s24, v12
	ds_read_b32 v29, v31 offset:32
	v_and_b32_e32 v12, v32, v12
	v_and_b32_e32 v13, v10, v13
	v_mbcnt_lo_u32_b32 v10, v12, 0
	v_mbcnt_hi_u32_b32 v30, v13, v10
	v_cmp_eq_u32_e64 s[24:25], 0, v30
	v_cmp_ne_u64_e64 s[26:27], 0, v[12:13]
	s_and_b64 s[26:27], s[26:27], s[24:25]
	; wave barrier
	s_and_saveexec_b64 s[24:25], s[26:27]
	s_cbranch_execz .LBB25_31
; %bb.30:
	v_bcnt_u32_b32 v10, v12, 0
	v_bcnt_u32_b32 v10, v13, v10
	s_waitcnt lgkmcnt(0)
	v_add_u32_e32 v10, v29, v10
	ds_write_b32 v31, v10 offset:32
.LBB25_31:
	s_or_b64 exec, exec, s[24:25]
	v_lshrrev_b32_e32 v10, s68, v7
	v_and_b32_e32 v33, s33, v10
	v_mul_lo_u32 v10, v33, 36
	v_lshl_add_u32 v35, v34, 2, v10
	v_and_b32_e32 v10, 1, v33
	v_lshl_add_u64 v[12:13], v[10:11], 0, -1
	v_cmp_ne_u32_e64 s[24:25], 0, v10
	; wave barrier
	s_nop 1
	v_xor_b32_e32 v12, s24, v12
	v_xor_b32_e32 v10, s25, v13
	v_and_b32_e32 v36, exec_lo, v12
	v_lshlrev_b32_e32 v13, 30, v33
	v_mov_b32_e32 v12, v11
	v_cmp_gt_i64_e64 s[24:25], 0, v[12:13]
	v_not_b32_e32 v12, v13
	v_ashrrev_i32_e32 v12, 31, v12
	v_and_b32_e32 v10, exec_hi, v10
	v_xor_b32_e32 v13, s25, v12
	v_xor_b32_e32 v12, s24, v12
	v_and_b32_e32 v10, v10, v13
	v_and_b32_e32 v36, v36, v12
	v_lshlrev_b32_e32 v13, 29, v33
	v_mov_b32_e32 v12, v11
	v_cmp_gt_i64_e64 s[24:25], 0, v[12:13]
	v_not_b32_e32 v12, v13
	v_ashrrev_i32_e32 v12, 31, v12
	v_xor_b32_e32 v13, s25, v12
	v_xor_b32_e32 v12, s24, v12
	v_and_b32_e32 v10, v10, v13
	v_and_b32_e32 v36, v36, v12
	v_lshlrev_b32_e32 v13, 28, v33
	v_mov_b32_e32 v12, v11
	v_cmp_gt_i64_e64 s[24:25], 0, v[12:13]
	v_not_b32_e32 v12, v13
	v_ashrrev_i32_e32 v12, 31, v12
	v_xor_b32_e32 v13, s25, v12
	v_xor_b32_e32 v12, s24, v12
	v_and_b32_e32 v10, v10, v13
	v_lshlrev_b32_e32 v13, 27, v33
	v_and_b32_e32 v36, v36, v12
	v_mov_b32_e32 v12, v11
	v_not_b32_e32 v11, v13
	v_cmp_gt_i64_e64 s[24:25], 0, v[12:13]
	v_ashrrev_i32_e32 v11, 31, v11
	ds_read_b32 v32, v35 offset:32
	v_xor_b32_e32 v12, s25, v11
	v_xor_b32_e32 v13, s24, v11
	v_and_b32_e32 v11, v10, v12
	v_and_b32_e32 v10, v36, v13
	v_mbcnt_lo_u32_b32 v12, v10, 0
	v_mbcnt_hi_u32_b32 v33, v11, v12
	v_cmp_eq_u32_e64 s[24:25], 0, v33
	v_cmp_ne_u64_e64 s[26:27], 0, v[10:11]
	s_and_b64 s[26:27], s[26:27], s[24:25]
	; wave barrier
	s_and_saveexec_b64 s[24:25], s[26:27]
	s_cbranch_execz .LBB25_33
; %bb.32:
	v_bcnt_u32_b32 v10, v10, 0
	v_bcnt_u32_b32 v10, v11, v10
	s_waitcnt lgkmcnt(0)
	v_add_u32_e32 v10, v32, v10
	ds_write_b32 v35, v10 offset:32
.LBB25_33:
	s_or_b64 exec, exec, s[24:25]
	v_lshrrev_b32_e32 v10, s68, v17
	v_and_b32_e32 v37, s33, v10
	v_mul_lo_u32 v10, v37, 36
	v_lshl_add_u32 v39, v34, 2, v10
	v_and_b32_e32 v10, 1, v37
	v_mov_b32_e32 v11, 0
	v_lshl_add_u64 v[12:13], v[10:11], 0, -1
	v_cmp_ne_u32_e64 s[24:25], 0, v10
	; wave barrier
	s_nop 1
	v_xor_b32_e32 v12, s24, v12
	v_xor_b32_e32 v10, s25, v13
	v_and_b32_e32 v38, exec_lo, v12
	v_lshlrev_b32_e32 v13, 30, v37
	v_mov_b32_e32 v12, v11
	v_cmp_gt_i64_e64 s[24:25], 0, v[12:13]
	v_not_b32_e32 v12, v13
	v_ashrrev_i32_e32 v12, 31, v12
	v_and_b32_e32 v10, exec_hi, v10
	v_xor_b32_e32 v13, s25, v12
	v_xor_b32_e32 v12, s24, v12
	v_and_b32_e32 v10, v10, v13
	v_and_b32_e32 v38, v38, v12
	v_lshlrev_b32_e32 v13, 29, v37
	v_mov_b32_e32 v12, v11
	v_cmp_gt_i64_e64 s[24:25], 0, v[12:13]
	v_not_b32_e32 v12, v13
	v_ashrrev_i32_e32 v12, 31, v12
	v_xor_b32_e32 v13, s25, v12
	v_xor_b32_e32 v12, s24, v12
	v_and_b32_e32 v10, v10, v13
	v_and_b32_e32 v38, v38, v12
	v_lshlrev_b32_e32 v13, 28, v37
	v_mov_b32_e32 v12, v11
	v_cmp_gt_i64_e64 s[24:25], 0, v[12:13]
	v_not_b32_e32 v12, v13
	v_ashrrev_i32_e32 v12, 31, v12
	;; [unrolled: 9-line block ×3, first 2 shown]
	v_xor_b32_e32 v13, s25, v12
	v_xor_b32_e32 v12, s24, v12
	ds_read_b32 v36, v39 offset:32
	v_and_b32_e32 v12, v38, v12
	v_and_b32_e32 v13, v10, v13
	v_mbcnt_lo_u32_b32 v10, v12, 0
	v_mbcnt_hi_u32_b32 v37, v13, v10
	v_cmp_eq_u32_e64 s[24:25], 0, v37
	v_cmp_ne_u64_e64 s[26:27], 0, v[12:13]
	s_and_b64 s[26:27], s[26:27], s[24:25]
	; wave barrier
	s_and_saveexec_b64 s[24:25], s[26:27]
	s_cbranch_execz .LBB25_35
; %bb.34:
	v_bcnt_u32_b32 v10, v12, 0
	v_bcnt_u32_b32 v10, v13, v10
	s_waitcnt lgkmcnt(0)
	v_add_u32_e32 v10, v36, v10
	ds_write_b32 v39, v10 offset:32
.LBB25_35:
	s_or_b64 exec, exec, s[24:25]
	v_lshrrev_b32_e32 v10, s68, v16
	v_and_b32_e32 v40, s33, v10
	v_mul_lo_u32 v10, v40, 36
	v_lshl_add_u32 v42, v34, 2, v10
	v_and_b32_e32 v10, 1, v40
	v_lshl_add_u64 v[12:13], v[10:11], 0, -1
	v_cmp_ne_u32_e64 s[24:25], 0, v10
	; wave barrier
	s_nop 1
	v_xor_b32_e32 v12, s24, v12
	v_xor_b32_e32 v10, s25, v13
	v_and_b32_e32 v41, exec_lo, v12
	v_lshlrev_b32_e32 v13, 30, v40
	v_mov_b32_e32 v12, v11
	v_cmp_gt_i64_e64 s[24:25], 0, v[12:13]
	v_not_b32_e32 v12, v13
	v_ashrrev_i32_e32 v12, 31, v12
	v_and_b32_e32 v10, exec_hi, v10
	v_xor_b32_e32 v13, s25, v12
	v_xor_b32_e32 v12, s24, v12
	v_and_b32_e32 v10, v10, v13
	v_and_b32_e32 v41, v41, v12
	v_lshlrev_b32_e32 v13, 29, v40
	v_mov_b32_e32 v12, v11
	v_cmp_gt_i64_e64 s[24:25], 0, v[12:13]
	v_not_b32_e32 v12, v13
	v_ashrrev_i32_e32 v12, 31, v12
	v_xor_b32_e32 v13, s25, v12
	v_xor_b32_e32 v12, s24, v12
	v_and_b32_e32 v10, v10, v13
	v_and_b32_e32 v41, v41, v12
	v_lshlrev_b32_e32 v13, 28, v40
	v_mov_b32_e32 v12, v11
	v_cmp_gt_i64_e64 s[24:25], 0, v[12:13]
	v_not_b32_e32 v12, v13
	v_ashrrev_i32_e32 v12, 31, v12
	v_xor_b32_e32 v13, s25, v12
	v_xor_b32_e32 v12, s24, v12
	v_and_b32_e32 v10, v10, v13
	v_lshlrev_b32_e32 v13, 27, v40
	v_and_b32_e32 v41, v41, v12
	v_mov_b32_e32 v12, v11
	v_not_b32_e32 v11, v13
	v_cmp_gt_i64_e64 s[24:25], 0, v[12:13]
	v_ashrrev_i32_e32 v11, 31, v11
	ds_read_b32 v38, v42 offset:32
	v_xor_b32_e32 v12, s25, v11
	v_xor_b32_e32 v13, s24, v11
	v_and_b32_e32 v11, v10, v12
	v_and_b32_e32 v10, v41, v13
	v_mbcnt_lo_u32_b32 v12, v10, 0
	v_mbcnt_hi_u32_b32 v40, v11, v12
	v_cmp_eq_u32_e64 s[24:25], 0, v40
	v_cmp_ne_u64_e64 s[26:27], 0, v[10:11]
	s_and_b64 s[26:27], s[26:27], s[24:25]
	; wave barrier
	s_and_saveexec_b64 s[24:25], s[26:27]
	s_cbranch_execz .LBB25_37
; %bb.36:
	v_bcnt_u32_b32 v10, v10, 0
	v_bcnt_u32_b32 v10, v11, v10
	s_waitcnt lgkmcnt(0)
	v_add_u32_e32 v10, v38, v10
	ds_write_b32 v42, v10 offset:32
.LBB25_37:
	s_or_b64 exec, exec, s[24:25]
	v_lshrrev_b32_e32 v10, s68, v19
	v_and_b32_e32 v43, s33, v10
	v_mul_lo_u32 v10, v43, 36
	v_lshl_add_u32 v45, v34, 2, v10
	v_and_b32_e32 v10, 1, v43
	v_mov_b32_e32 v11, 0
	v_lshl_add_u64 v[12:13], v[10:11], 0, -1
	v_cmp_ne_u32_e64 s[24:25], 0, v10
	; wave barrier
	s_nop 1
	v_xor_b32_e32 v12, s24, v12
	v_xor_b32_e32 v10, s25, v13
	v_and_b32_e32 v44, exec_lo, v12
	v_lshlrev_b32_e32 v13, 30, v43
	v_mov_b32_e32 v12, v11
	v_cmp_gt_i64_e64 s[24:25], 0, v[12:13]
	v_not_b32_e32 v12, v13
	v_ashrrev_i32_e32 v12, 31, v12
	v_and_b32_e32 v10, exec_hi, v10
	v_xor_b32_e32 v13, s25, v12
	v_xor_b32_e32 v12, s24, v12
	v_and_b32_e32 v10, v10, v13
	v_and_b32_e32 v44, v44, v12
	v_lshlrev_b32_e32 v13, 29, v43
	v_mov_b32_e32 v12, v11
	v_cmp_gt_i64_e64 s[24:25], 0, v[12:13]
	v_not_b32_e32 v12, v13
	v_ashrrev_i32_e32 v12, 31, v12
	v_xor_b32_e32 v13, s25, v12
	v_xor_b32_e32 v12, s24, v12
	v_and_b32_e32 v10, v10, v13
	v_and_b32_e32 v44, v44, v12
	v_lshlrev_b32_e32 v13, 28, v43
	v_mov_b32_e32 v12, v11
	v_cmp_gt_i64_e64 s[24:25], 0, v[12:13]
	v_not_b32_e32 v12, v13
	v_ashrrev_i32_e32 v12, 31, v12
	;; [unrolled: 9-line block ×3, first 2 shown]
	v_xor_b32_e32 v13, s25, v12
	v_xor_b32_e32 v12, s24, v12
	ds_read_b32 v41, v45 offset:32
	v_and_b32_e32 v12, v44, v12
	v_and_b32_e32 v13, v10, v13
	v_mbcnt_lo_u32_b32 v10, v12, 0
	v_mbcnt_hi_u32_b32 v43, v13, v10
	v_cmp_eq_u32_e64 s[24:25], 0, v43
	v_cmp_ne_u64_e64 s[26:27], 0, v[12:13]
	s_and_b64 s[26:27], s[26:27], s[24:25]
	; wave barrier
	s_and_saveexec_b64 s[24:25], s[26:27]
	s_cbranch_execz .LBB25_39
; %bb.38:
	v_bcnt_u32_b32 v10, v12, 0
	v_bcnt_u32_b32 v10, v13, v10
	s_waitcnt lgkmcnt(0)
	v_add_u32_e32 v10, v41, v10
	ds_write_b32 v45, v10 offset:32
.LBB25_39:
	s_or_b64 exec, exec, s[24:25]
	v_lshrrev_b32_e32 v10, s68, v18
	v_and_b32_e32 v46, s33, v10
	v_mul_lo_u32 v10, v46, 36
	v_lshl_add_u32 v48, v34, 2, v10
	v_and_b32_e32 v10, 1, v46
	v_lshl_add_u64 v[12:13], v[10:11], 0, -1
	v_cmp_ne_u32_e64 s[24:25], 0, v10
	; wave barrier
	s_nop 1
	v_xor_b32_e32 v12, s24, v12
	v_xor_b32_e32 v10, s25, v13
	v_and_b32_e32 v47, exec_lo, v12
	v_lshlrev_b32_e32 v13, 30, v46
	v_mov_b32_e32 v12, v11
	v_cmp_gt_i64_e64 s[24:25], 0, v[12:13]
	v_not_b32_e32 v12, v13
	v_ashrrev_i32_e32 v12, 31, v12
	v_and_b32_e32 v10, exec_hi, v10
	v_xor_b32_e32 v13, s25, v12
	v_xor_b32_e32 v12, s24, v12
	v_and_b32_e32 v10, v10, v13
	v_and_b32_e32 v47, v47, v12
	v_lshlrev_b32_e32 v13, 29, v46
	v_mov_b32_e32 v12, v11
	v_cmp_gt_i64_e64 s[24:25], 0, v[12:13]
	v_not_b32_e32 v12, v13
	v_ashrrev_i32_e32 v12, 31, v12
	v_xor_b32_e32 v13, s25, v12
	v_xor_b32_e32 v12, s24, v12
	v_and_b32_e32 v10, v10, v13
	v_and_b32_e32 v47, v47, v12
	v_lshlrev_b32_e32 v13, 28, v46
	v_mov_b32_e32 v12, v11
	v_cmp_gt_i64_e64 s[24:25], 0, v[12:13]
	v_not_b32_e32 v12, v13
	v_ashrrev_i32_e32 v12, 31, v12
	v_xor_b32_e32 v13, s25, v12
	v_xor_b32_e32 v12, s24, v12
	v_and_b32_e32 v10, v10, v13
	v_lshlrev_b32_e32 v13, 27, v46
	v_and_b32_e32 v47, v47, v12
	v_mov_b32_e32 v12, v11
	v_not_b32_e32 v11, v13
	v_cmp_gt_i64_e64 s[24:25], 0, v[12:13]
	v_ashrrev_i32_e32 v11, 31, v11
	ds_read_b32 v44, v48 offset:32
	v_xor_b32_e32 v12, s25, v11
	v_xor_b32_e32 v13, s24, v11
	v_and_b32_e32 v11, v10, v12
	v_and_b32_e32 v10, v47, v13
	v_mbcnt_lo_u32_b32 v12, v10, 0
	v_mbcnt_hi_u32_b32 v46, v11, v12
	v_cmp_eq_u32_e64 s[24:25], 0, v46
	v_cmp_ne_u64_e64 s[26:27], 0, v[10:11]
	s_and_b64 s[26:27], s[26:27], s[24:25]
	; wave barrier
	s_and_saveexec_b64 s[24:25], s[26:27]
	s_cbranch_execz .LBB25_41
; %bb.40:
	v_bcnt_u32_b32 v10, v10, 0
	v_bcnt_u32_b32 v10, v11, v10
	s_waitcnt lgkmcnt(0)
	v_add_u32_e32 v10, v44, v10
	ds_write_b32 v48, v10 offset:32
.LBB25_41:
	s_or_b64 exec, exec, s[24:25]
	v_lshrrev_b32_e32 v10, s68, v21
	v_and_b32_e32 v49, s33, v10
	v_mul_lo_u32 v10, v49, 36
	v_lshl_add_u32 v51, v34, 2, v10
	v_and_b32_e32 v10, 1, v49
	v_mov_b32_e32 v11, 0
	v_lshl_add_u64 v[12:13], v[10:11], 0, -1
	v_cmp_ne_u32_e64 s[24:25], 0, v10
	; wave barrier
	s_nop 1
	v_xor_b32_e32 v12, s24, v12
	v_xor_b32_e32 v10, s25, v13
	v_and_b32_e32 v50, exec_lo, v12
	v_lshlrev_b32_e32 v13, 30, v49
	v_mov_b32_e32 v12, v11
	v_cmp_gt_i64_e64 s[24:25], 0, v[12:13]
	v_not_b32_e32 v12, v13
	v_ashrrev_i32_e32 v12, 31, v12
	v_and_b32_e32 v10, exec_hi, v10
	v_xor_b32_e32 v13, s25, v12
	v_xor_b32_e32 v12, s24, v12
	v_and_b32_e32 v10, v10, v13
	v_and_b32_e32 v50, v50, v12
	v_lshlrev_b32_e32 v13, 29, v49
	v_mov_b32_e32 v12, v11
	v_cmp_gt_i64_e64 s[24:25], 0, v[12:13]
	v_not_b32_e32 v12, v13
	v_ashrrev_i32_e32 v12, 31, v12
	v_xor_b32_e32 v13, s25, v12
	v_xor_b32_e32 v12, s24, v12
	v_and_b32_e32 v10, v10, v13
	v_and_b32_e32 v50, v50, v12
	v_lshlrev_b32_e32 v13, 28, v49
	v_mov_b32_e32 v12, v11
	v_cmp_gt_i64_e64 s[24:25], 0, v[12:13]
	v_not_b32_e32 v12, v13
	v_ashrrev_i32_e32 v12, 31, v12
	;; [unrolled: 9-line block ×3, first 2 shown]
	v_xor_b32_e32 v13, s25, v12
	v_xor_b32_e32 v12, s24, v12
	ds_read_b32 v47, v51 offset:32
	v_and_b32_e32 v12, v50, v12
	v_and_b32_e32 v13, v10, v13
	v_mbcnt_lo_u32_b32 v10, v12, 0
	v_mbcnt_hi_u32_b32 v49, v13, v10
	v_cmp_eq_u32_e64 s[24:25], 0, v49
	v_cmp_ne_u64_e64 s[26:27], 0, v[12:13]
	s_and_b64 s[26:27], s[26:27], s[24:25]
	; wave barrier
	s_and_saveexec_b64 s[24:25], s[26:27]
	s_cbranch_execz .LBB25_43
; %bb.42:
	v_bcnt_u32_b32 v10, v12, 0
	v_bcnt_u32_b32 v10, v13, v10
	s_waitcnt lgkmcnt(0)
	v_add_u32_e32 v10, v47, v10
	ds_write_b32 v51, v10 offset:32
.LBB25_43:
	s_or_b64 exec, exec, s[24:25]
	v_lshrrev_b32_e32 v10, s68, v20
	v_and_b32_e32 v52, s33, v10
	v_mul_lo_u32 v10, v52, 36
	v_lshl_add_u32 v54, v34, 2, v10
	v_and_b32_e32 v10, 1, v52
	v_lshl_add_u64 v[12:13], v[10:11], 0, -1
	v_cmp_ne_u32_e64 s[24:25], 0, v10
	; wave barrier
	s_nop 1
	v_xor_b32_e32 v12, s24, v12
	v_xor_b32_e32 v10, s25, v13
	v_and_b32_e32 v53, exec_lo, v12
	v_lshlrev_b32_e32 v13, 30, v52
	v_mov_b32_e32 v12, v11
	v_cmp_gt_i64_e64 s[24:25], 0, v[12:13]
	v_not_b32_e32 v12, v13
	v_ashrrev_i32_e32 v12, 31, v12
	v_and_b32_e32 v10, exec_hi, v10
	v_xor_b32_e32 v13, s25, v12
	v_xor_b32_e32 v12, s24, v12
	v_and_b32_e32 v10, v10, v13
	v_and_b32_e32 v53, v53, v12
	v_lshlrev_b32_e32 v13, 29, v52
	v_mov_b32_e32 v12, v11
	v_cmp_gt_i64_e64 s[24:25], 0, v[12:13]
	v_not_b32_e32 v12, v13
	v_ashrrev_i32_e32 v12, 31, v12
	v_xor_b32_e32 v13, s25, v12
	v_xor_b32_e32 v12, s24, v12
	v_and_b32_e32 v10, v10, v13
	v_and_b32_e32 v53, v53, v12
	v_lshlrev_b32_e32 v13, 28, v52
	v_mov_b32_e32 v12, v11
	v_cmp_gt_i64_e64 s[24:25], 0, v[12:13]
	v_not_b32_e32 v12, v13
	v_ashrrev_i32_e32 v12, 31, v12
	v_xor_b32_e32 v13, s25, v12
	v_xor_b32_e32 v12, s24, v12
	v_and_b32_e32 v10, v10, v13
	v_lshlrev_b32_e32 v13, 27, v52
	v_and_b32_e32 v53, v53, v12
	v_mov_b32_e32 v12, v11
	v_not_b32_e32 v11, v13
	v_cmp_gt_i64_e64 s[24:25], 0, v[12:13]
	v_ashrrev_i32_e32 v11, 31, v11
	ds_read_b32 v50, v54 offset:32
	v_xor_b32_e32 v12, s25, v11
	v_xor_b32_e32 v13, s24, v11
	v_and_b32_e32 v11, v10, v12
	v_and_b32_e32 v10, v53, v13
	v_mbcnt_lo_u32_b32 v12, v10, 0
	v_mbcnt_hi_u32_b32 v52, v11, v12
	v_cmp_eq_u32_e64 s[24:25], 0, v52
	v_cmp_ne_u64_e64 s[26:27], 0, v[10:11]
	s_and_b64 s[26:27], s[26:27], s[24:25]
	; wave barrier
	s_and_saveexec_b64 s[24:25], s[26:27]
	s_cbranch_execz .LBB25_45
; %bb.44:
	v_bcnt_u32_b32 v10, v10, 0
	v_bcnt_u32_b32 v10, v11, v10
	s_waitcnt lgkmcnt(0)
	v_add_u32_e32 v10, v50, v10
	ds_write_b32 v54, v10 offset:32
.LBB25_45:
	s_or_b64 exec, exec, s[24:25]
	v_lshrrev_b32_e32 v10, s68, v23
	v_and_b32_e32 v55, s33, v10
	v_mul_lo_u32 v10, v55, 36
	v_lshl_add_u32 v57, v34, 2, v10
	v_and_b32_e32 v10, 1, v55
	v_mov_b32_e32 v11, 0
	v_lshl_add_u64 v[12:13], v[10:11], 0, -1
	v_cmp_ne_u32_e64 s[24:25], 0, v10
	; wave barrier
	s_nop 1
	v_xor_b32_e32 v12, s24, v12
	v_xor_b32_e32 v10, s25, v13
	v_and_b32_e32 v56, exec_lo, v12
	v_lshlrev_b32_e32 v13, 30, v55
	v_mov_b32_e32 v12, v11
	v_cmp_gt_i64_e64 s[24:25], 0, v[12:13]
	v_not_b32_e32 v12, v13
	v_ashrrev_i32_e32 v12, 31, v12
	v_and_b32_e32 v10, exec_hi, v10
	v_xor_b32_e32 v13, s25, v12
	v_xor_b32_e32 v12, s24, v12
	v_and_b32_e32 v10, v10, v13
	v_and_b32_e32 v56, v56, v12
	v_lshlrev_b32_e32 v13, 29, v55
	v_mov_b32_e32 v12, v11
	v_cmp_gt_i64_e64 s[24:25], 0, v[12:13]
	v_not_b32_e32 v12, v13
	v_ashrrev_i32_e32 v12, 31, v12
	v_xor_b32_e32 v13, s25, v12
	v_xor_b32_e32 v12, s24, v12
	v_and_b32_e32 v10, v10, v13
	v_and_b32_e32 v56, v56, v12
	v_lshlrev_b32_e32 v13, 28, v55
	v_mov_b32_e32 v12, v11
	v_cmp_gt_i64_e64 s[24:25], 0, v[12:13]
	v_not_b32_e32 v12, v13
	v_ashrrev_i32_e32 v12, 31, v12
	;; [unrolled: 9-line block ×3, first 2 shown]
	v_xor_b32_e32 v13, s25, v12
	v_xor_b32_e32 v12, s24, v12
	ds_read_b32 v53, v57 offset:32
	v_and_b32_e32 v12, v56, v12
	v_and_b32_e32 v13, v10, v13
	v_mbcnt_lo_u32_b32 v10, v12, 0
	v_mbcnt_hi_u32_b32 v55, v13, v10
	v_cmp_eq_u32_e64 s[24:25], 0, v55
	v_cmp_ne_u64_e64 s[26:27], 0, v[12:13]
	s_and_b64 s[26:27], s[26:27], s[24:25]
	; wave barrier
	s_and_saveexec_b64 s[24:25], s[26:27]
	s_cbranch_execz .LBB25_47
; %bb.46:
	v_bcnt_u32_b32 v10, v12, 0
	v_bcnt_u32_b32 v10, v13, v10
	s_waitcnt lgkmcnt(0)
	v_add_u32_e32 v10, v53, v10
	ds_write_b32 v57, v10 offset:32
.LBB25_47:
	s_or_b64 exec, exec, s[24:25]
	v_lshrrev_b32_e32 v10, s68, v22
	v_and_b32_e32 v13, s33, v10
	v_mul_lo_u32 v10, v13, 36
	v_lshl_add_u32 v12, v34, 2, v10
	v_and_b32_e32 v10, 1, v13
	v_lshl_add_u64 v[58:59], v[10:11], 0, -1
	v_cmp_ne_u32_e64 s[24:25], 0, v10
	; wave barrier
	s_nop 1
	v_xor_b32_e32 v10, s25, v59
	v_xor_b32_e32 v34, s24, v58
	v_lshlrev_b32_e32 v59, 30, v13
	v_mov_b32_e32 v58, v11
	v_cmp_gt_i64_e64 s[24:25], 0, v[58:59]
	v_not_b32_e32 v58, v59
	v_ashrrev_i32_e32 v58, 31, v58
	v_and_b32_e32 v10, exec_hi, v10
	v_and_b32_e32 v34, exec_lo, v34
	v_xor_b32_e32 v59, s25, v58
	v_xor_b32_e32 v58, s24, v58
	v_and_b32_e32 v10, v10, v59
	v_and_b32_e32 v34, v34, v58
	v_lshlrev_b32_e32 v59, 29, v13
	v_mov_b32_e32 v58, v11
	v_cmp_gt_i64_e64 s[24:25], 0, v[58:59]
	v_not_b32_e32 v58, v59
	v_ashrrev_i32_e32 v58, 31, v58
	v_xor_b32_e32 v59, s25, v58
	v_xor_b32_e32 v58, s24, v58
	v_and_b32_e32 v10, v10, v59
	v_and_b32_e32 v34, v34, v58
	v_lshlrev_b32_e32 v59, 28, v13
	v_mov_b32_e32 v58, v11
	v_cmp_gt_i64_e64 s[24:25], 0, v[58:59]
	v_not_b32_e32 v58, v59
	v_ashrrev_i32_e32 v58, 31, v58
	v_xor_b32_e32 v59, s25, v58
	v_xor_b32_e32 v58, s24, v58
	v_and_b32_e32 v10, v10, v59
	v_lshlrev_b32_e32 v59, 27, v13
	v_and_b32_e32 v34, v34, v58
	v_mov_b32_e32 v58, v11
	v_not_b32_e32 v11, v59
	v_cmp_gt_i64_e64 s[24:25], 0, v[58:59]
	v_ashrrev_i32_e32 v11, 31, v11
	ds_read_b32 v56, v12 offset:32
	v_xor_b32_e32 v13, s25, v11
	v_xor_b32_e32 v58, s24, v11
	v_and_b32_e32 v11, v10, v13
	v_and_b32_e32 v10, v34, v58
	v_mbcnt_lo_u32_b32 v13, v10, 0
	v_mbcnt_hi_u32_b32 v58, v11, v13
	v_cmp_eq_u32_e64 s[24:25], 0, v58
	v_cmp_ne_u64_e64 s[26:27], 0, v[10:11]
	s_and_b64 s[26:27], s[26:27], s[24:25]
	; wave barrier
	s_and_saveexec_b64 s[24:25], s[26:27]
	s_cbranch_execz .LBB25_49
; %bb.48:
	v_bcnt_u32_b32 v10, v10, 0
	v_bcnt_u32_b32 v10, v11, v10
	s_waitcnt lgkmcnt(0)
	v_add_u32_e32 v10, v56, v10
	ds_write_b32 v12, v10 offset:32
.LBB25_49:
	s_or_b64 exec, exec, s[24:25]
	; wave barrier
	s_waitcnt lgkmcnt(0)
	s_barrier
	ds_read_b32 v10, v2 offset:32
	v_and_b32_e32 v11, 15, v15
	v_cmp_ne_u32_e64 s[24:25], 0, v11
	s_waitcnt lgkmcnt(0)
	v_mov_b32_dpp v13, v10 row_shr:1 row_mask:0xf bank_mask:0xf
	v_cndmask_b32_e64 v13, 0, v13, s[24:25]
	v_add_u32_e32 v10, v13, v10
	v_cmp_lt_u32_e64 s[24:25], 1, v11
	s_nop 0
	v_mov_b32_dpp v13, v10 row_shr:2 row_mask:0xf bank_mask:0xf
	v_cndmask_b32_e64 v13, 0, v13, s[24:25]
	v_add_u32_e32 v10, v10, v13
	v_cmp_lt_u32_e64 s[24:25], 3, v11
	s_nop 0
	;; [unrolled: 5-line block ×3, first 2 shown]
	v_mov_b32_dpp v13, v10 row_shr:8 row_mask:0xf bank_mask:0xf
	v_cndmask_b32_e64 v11, 0, v13, s[24:25]
	v_add_u32_e32 v10, v10, v11
	v_bfe_i32 v13, v15, 4, 1
	v_cmp_lt_u32_e64 s[24:25], 31, v15
	v_mov_b32_dpp v11, v10 row_bcast:15 row_mask:0xf bank_mask:0xf
	v_and_b32_e32 v11, v13, v11
	v_add_u32_e32 v10, v10, v11
	v_min_u32_e32 v13, 0x1c0, v24
	v_or_b32_e32 v13, 63, v13
	v_mov_b32_dpp v11, v10 row_bcast:31 row_mask:0xf bank_mask:0xf
	v_cndmask_b32_e64 v11, 0, v11, s[24:25]
	v_add_u32_e32 v10, v10, v11
	v_lshrrev_b32_e32 v11, 6, v8
	v_cmp_eq_u32_e64 s[24:25], v8, v13
	s_and_saveexec_b64 s[26:27], s[24:25]
; %bb.50:
	v_lshlrev_b32_e32 v13, 2, v11
	ds_write_b32 v13, v10
; %bb.51:
	s_or_b64 exec, exec, s[26:27]
	v_cmp_gt_u32_e64 s[24:25], 8, v8
	s_waitcnt lgkmcnt(0)
	s_barrier
	s_and_saveexec_b64 s[26:27], s[24:25]
	s_cbranch_execz .LBB25_53
; %bb.52:
	ds_read_b32 v13, v2
	v_and_b32_e32 v24, 7, v15
	v_cmp_ne_u32_e64 s[24:25], 0, v24
	s_waitcnt lgkmcnt(0)
	v_mov_b32_dpp v34, v13 row_shr:1 row_mask:0xf bank_mask:0xf
	v_cndmask_b32_e64 v34, 0, v34, s[24:25]
	v_add_u32_e32 v13, v34, v13
	v_cmp_lt_u32_e64 s[24:25], 1, v24
	s_nop 0
	v_mov_b32_dpp v34, v13 row_shr:2 row_mask:0xf bank_mask:0xf
	v_cndmask_b32_e64 v34, 0, v34, s[24:25]
	v_add_u32_e32 v13, v13, v34
	v_cmp_lt_u32_e64 s[24:25], 3, v24
	s_nop 0
	v_mov_b32_dpp v34, v13 row_shr:4 row_mask:0xf bank_mask:0xf
	v_cndmask_b32_e64 v24, 0, v34, s[24:25]
	v_add_u32_e32 v13, v13, v24
	ds_write_b32 v2, v13
.LBB25_53:
	s_or_b64 exec, exec, s[26:27]
	v_cmp_lt_u32_e64 s[24:25], 63, v8
	v_mov_b32_e32 v13, 0
	s_waitcnt lgkmcnt(0)
	s_barrier
	s_and_saveexec_b64 s[26:27], s[24:25]
; %bb.54:
	v_lshl_add_u32 v11, v11, 2, -4
	ds_read_b32 v13, v11
; %bb.55:
	s_or_b64 exec, exec, s[26:27]
	v_add_u32_e32 v11, -1, v15
	v_and_b32_e32 v24, 64, v15
	v_cmp_lt_i32_e64 s[24:25], v11, v24
	s_waitcnt lgkmcnt(0)
	v_add_u32_e32 v10, v13, v10
	v_cmp_gt_u32_e64 s[26:27], 32, v8
	v_cndmask_b32_e64 v11, v11, v15, s[24:25]
	v_lshlrev_b32_e32 v11, 2, v11
	ds_bpermute_b32 v10, v11, v10
	v_cmp_eq_u32_e64 s[24:25], 0, v15
	s_waitcnt lgkmcnt(0)
	s_nop 0
	v_cndmask_b32_e64 v10, v10, v13, s[24:25]
	ds_write_b32 v2, v10 offset:32
	s_waitcnt lgkmcnt(0)
	s_barrier
	ds_read_b32 v13, v26 offset:32
	ds_read_b32 v34, v28 offset:32
	ds_read_b32 v62, v31 offset:32
	ds_read_b32 v61, v35 offset:32
	ds_read_b32 v60, v39 offset:32
	ds_read_b32 v59, v42 offset:32
	ds_read_b32 v42, v45 offset:32
	ds_read_b32 v39, v48 offset:32
	ds_read_b32 v31, v51 offset:32
	ds_read_b32 v28, v54 offset:32
	ds_read_b32 v26, v57 offset:32
	ds_read_b32 v24, v12 offset:32
	v_cmp_lt_u32_e64 s[24:25], 31, v8
	v_mov_b64_e32 v[10:11], 0
                                        ; implicit-def: $vgpr12
	s_and_saveexec_b64 s[30:31], s[26:27]
	s_cbranch_execz .LBB25_59
; %bb.56:
	v_mul_u32_u24_e32 v10, 36, v8
	ds_read_b32 v10, v10 offset:32
	v_add_u32_e32 v12, 1, v8
	v_cmp_ne_u32_e64 s[28:29], 32, v12
	v_mov_b32_e32 v11, 0x1800
	s_and_saveexec_b64 s[34:35], s[28:29]
; %bb.57:
	v_mul_u32_u24_e32 v11, 36, v12
	ds_read_b32 v11, v11 offset:32
; %bb.58:
	s_or_b64 exec, exec, s[34:35]
	s_waitcnt lgkmcnt(0)
	v_sub_u32_e32 v12, v11, v10
	v_mov_b32_e32 v11, 0
.LBB25_59:
	s_or_b64 exec, exec, s[30:31]
	v_lshlrev_b32_e32 v3, 2, v3
	s_waitcnt lgkmcnt(11)
	v_lshl_add_u32 v13, v13, 2, v3
	s_waitcnt lgkmcnt(0)
	s_barrier
	ds_write_b32 v13, v5 offset:256
	v_lshlrev_b32_e32 v3, 2, v34
	v_lshlrev_b32_e32 v5, 2, v27
	;; [unrolled: 1-line block ×3, first 2 shown]
	v_add3_u32 v34, v3, v5, v25
	ds_write_b32 v34, v9 offset:256
	v_lshlrev_b32_e32 v3, 2, v62
	v_lshlrev_b32_e32 v5, 2, v30
	;; [unrolled: 1-line block ×3, first 2 shown]
	v_add3_u32 v35, v3, v5, v9
	v_lshlrev_b32_e32 v3, 2, v61
	v_lshlrev_b32_e32 v5, 2, v33
	;; [unrolled: 1-line block ×3, first 2 shown]
	v_add3_u32 v33, v3, v5, v9
	ds_write_b32 v35, v14 offset:256
	ds_write_b32 v33, v7 offset:256
	v_lshlrev_b32_e32 v3, 2, v60
	v_lshlrev_b32_e32 v5, 2, v37
	v_lshlrev_b32_e32 v7, 2, v36
	v_add3_u32 v36, v3, v5, v7
	v_lshlrev_b32_e32 v3, 2, v59
	v_lshlrev_b32_e32 v5, 2, v40
	v_lshlrev_b32_e32 v7, 2, v38
	v_add3_u32 v37, v3, v5, v7
	;; [unrolled: 4-line block ×7, first 2 shown]
	v_lshlrev_b32_e32 v3, 2, v24
	v_lshlrev_b32_e32 v5, 2, v58
	;; [unrolled: 1-line block ×3, first 2 shown]
	v_mov_b32_e32 v15, 0
	v_add3_u32 v43, v3, v5, v7
	v_lshlrev_b32_e32 v32, 3, v8
	ds_write_b32 v36, v17 offset:256
	ds_write_b32 v37, v16 offset:256
	;; [unrolled: 1-line block ×8, first 2 shown]
	s_waitcnt lgkmcnt(0)
	s_barrier
	s_and_saveexec_b64 s[28:29], s[26:27]
	s_cbranch_execz .LBB25_69
; %bb.60:
	v_lshl_add_u32 v14, s2, 5, v8
	v_lshl_add_u64 v[16:17], v[14:15], 2, s[54:55]
	v_or_b32_e32 v3, 2.0, v12
	global_store_dword v[16:17], v3, off sc1
	s_mov_b64 s[30:31], 0
	s_brev_b32 s38, -4
	s_mov_b32 s39, s2
	v_mov_b32_e32 v3, 0
                                        ; implicit-def: $sgpr26_sgpr27
	s_branch .LBB25_63
.LBB25_61:                              ;   in Loop: Header=BB25_63 Depth=1
	s_or_b64 exec, exec, s[36:37]
.LBB25_62:                              ;   in Loop: Header=BB25_63 Depth=1
	s_or_b64 exec, exec, s[34:35]
	v_and_b32_e32 v7, 0x3fffffff, v5
	v_add_u32_e32 v3, v7, v3
	v_cmp_gt_i32_e64 s[26:27], -2.0, v5
	s_and_b64 s[34:35], exec, s[26:27]
	s_or_b64 s[30:31], s[34:35], s[30:31]
	s_andn2_b64 exec, exec, s[30:31]
	s_cbranch_execz .LBB25_68
.LBB25_63:                              ; =>This Loop Header: Depth=1
                                        ;     Child Loop BB25_66 Depth 2
	s_or_b64 s[26:27], s[26:27], exec
	s_cmp_eq_u32 s39, 0
	s_cbranch_scc1 .LBB25_67
; %bb.64:                               ;   in Loop: Header=BB25_63 Depth=1
	s_add_i32 s39, s39, -1
	v_lshl_or_b32 v14, s39, 5, v8
	v_lshl_add_u64 v[18:19], v[14:15], 2, s[54:55]
	global_load_dword v5, v[18:19], off sc1
	s_waitcnt vmcnt(0)
	v_cmp_gt_u32_e64 s[26:27], 2.0, v5
	s_and_saveexec_b64 s[34:35], s[26:27]
	s_cbranch_execz .LBB25_62
; %bb.65:                               ;   in Loop: Header=BB25_63 Depth=1
	s_mov_b64 s[36:37], 0
.LBB25_66:                              ;   Parent Loop BB25_63 Depth=1
                                        ; =>  This Inner Loop Header: Depth=2
	global_load_dword v5, v[18:19], off sc1
	s_waitcnt vmcnt(0)
	v_cmp_lt_u32_e64 s[26:27], s38, v5
	s_or_b64 s[36:37], s[26:27], s[36:37]
	s_andn2_b64 exec, exec, s[36:37]
	s_cbranch_execnz .LBB25_66
	s_branch .LBB25_61
.LBB25_67:                              ;   in Loop: Header=BB25_63 Depth=1
                                        ; implicit-def: $sgpr39
	s_and_b64 s[34:35], exec, s[26:27]
	s_or_b64 s[30:31], s[34:35], s[30:31]
	s_andn2_b64 exec, exec, s[30:31]
	s_cbranch_execnz .LBB25_63
.LBB25_68:
	s_or_b64 exec, exec, s[30:31]
	v_add_u32_e32 v5, v3, v12
	v_or_b32_e32 v5, 0x80000000, v5
	global_store_dword v[16:17], v5, off sc1
	global_load_dwordx2 v[14:15], v32, s[64:65]
	v_sub_co_u32_e64 v16, s[26:27], v3, v10
	s_nop 1
	v_subb_co_u32_e64 v17, s[26:27], 0, v11, s[26:27]
	s_waitcnt vmcnt(0)
	v_lshl_add_u64 v[14:15], v[16:17], 0, v[14:15]
	ds_write_b64 v32, v[14:15]
.LBB25_69:
	s_or_b64 exec, exec, s[28:29]
	v_cmp_gt_u32_e64 s[26:27], s73, v8
	s_waitcnt lgkmcnt(0)
	s_barrier
	s_and_saveexec_b64 s[28:29], s[26:27]
	s_cbranch_execz .LBB25_71
; %bb.70:
	v_sub_u32_e32 v3, v32, v2
	ds_read_b32 v3, v3 offset:256
	s_waitcnt lgkmcnt(0)
	v_lshrrev_b32_e32 v5, s68, v3
	v_and_b32_e32 v5, s33, v5
	v_lshlrev_b32_e32 v5, 3, v5
	ds_read_b64 v[14:15], v5
	v_xor_b32_e32 v5, 0x80000000, v3
	v_mov_b32_e32 v3, 0
	s_waitcnt lgkmcnt(0)
	v_lshl_add_u64 v[14:15], v[14:15], 2, s[58:59]
	v_lshl_add_u64 v[14:15], v[14:15], 0, v[2:3]
	global_store_dword v[14:15], v5, off
.LBB25_71:
	s_or_b64 exec, exec, s[28:29]
	v_add_u32_e32 v3, 0x200, v8
	v_cmp_gt_u32_e64 s[28:29], s73, v3
	s_and_saveexec_b64 s[30:31], s[28:29]
	s_cbranch_execz .LBB25_73
; %bb.72:
	v_sub_u32_e32 v3, v32, v2
	ds_read_b32 v3, v3 offset:2304
	s_waitcnt lgkmcnt(0)
	v_lshrrev_b32_e32 v5, s68, v3
	v_and_b32_e32 v5, s33, v5
	v_lshlrev_b32_e32 v5, 3, v5
	ds_read_b64 v[14:15], v5
	v_xor_b32_e32 v5, 0x80000000, v3
	v_mov_b32_e32 v3, 0
	s_waitcnt lgkmcnt(0)
	v_lshl_add_u64 v[14:15], v[14:15], 2, s[58:59]
	v_lshl_add_u64 v[14:15], v[14:15], 0, v[2:3]
	global_store_dword v[14:15], v5, off offset:2048
.LBB25_73:
	s_or_b64 exec, exec, s[30:31]
	v_or_b32_e32 v3, 0x400, v8
	v_cmp_gt_u32_e64 s[30:31], s73, v3
	v_lshlrev_b32_e32 v14, 2, v3
	s_and_saveexec_b64 s[34:35], s[30:31]
	s_cbranch_execz .LBB25_75
; %bb.74:
	v_sub_u32_e32 v3, v32, v2
	ds_read_b32 v3, v3 offset:4352
	v_mov_b32_e32 v15, 0
	s_waitcnt lgkmcnt(0)
	v_lshrrev_b32_e32 v5, s68, v3
	v_and_b32_e32 v5, s33, v5
	v_lshlrev_b32_e32 v5, 3, v5
	ds_read_b64 v[16:17], v5
	v_xor_b32_e32 v3, 0x80000000, v3
	s_waitcnt lgkmcnt(0)
	v_lshl_add_u64 v[16:17], v[16:17], 2, s[58:59]
	v_lshl_add_u64 v[16:17], v[16:17], 0, v[14:15]
	global_store_dword v[16:17], v3, off
.LBB25_75:
	s_or_b64 exec, exec, s[34:35]
	v_add_u32_e32 v3, 0x600, v8
	v_cmp_gt_u32_e64 s[34:35], s73, v3
	v_lshlrev_b32_e32 v16, 2, v3
	s_and_saveexec_b64 s[36:37], s[34:35]
	s_cbranch_execz .LBB25_77
; %bb.76:
	v_sub_u32_e32 v3, v32, v2
	ds_read_b32 v3, v3 offset:6400
	v_mov_b32_e32 v17, 0
	s_waitcnt lgkmcnt(0)
	v_lshrrev_b32_e32 v5, s68, v3
	v_and_b32_e32 v5, s33, v5
	v_lshlrev_b32_e32 v5, 3, v5
	ds_read_b64 v[18:19], v5
	v_xor_b32_e32 v3, 0x80000000, v3
	s_waitcnt lgkmcnt(0)
	v_lshl_add_u64 v[18:19], v[18:19], 2, s[58:59]
	v_lshl_add_u64 v[18:19], v[18:19], 0, v[16:17]
	global_store_dword v[18:19], v3, off
.LBB25_77:
	s_or_b64 exec, exec, s[36:37]
	v_or_b32_e32 v3, 0x800, v8
	v_cmp_gt_u32_e64 s[36:37], s73, v3
	v_lshlrev_b32_e32 v18, 2, v3
	s_and_saveexec_b64 s[38:39], s[36:37]
	s_cbranch_execz .LBB25_79
; %bb.78:
	v_sub_u32_e32 v3, v32, v2
	ds_read_b32 v3, v3 offset:8448
	v_mov_b32_e32 v19, 0
	s_waitcnt lgkmcnt(0)
	v_lshrrev_b32_e32 v5, s68, v3
	v_and_b32_e32 v5, s33, v5
	v_lshlrev_b32_e32 v5, 3, v5
	ds_read_b64 v[20:21], v5
	v_xor_b32_e32 v3, 0x80000000, v3
	s_waitcnt lgkmcnt(0)
	v_lshl_add_u64 v[20:21], v[20:21], 2, s[58:59]
	v_lshl_add_u64 v[20:21], v[20:21], 0, v[18:19]
	global_store_dword v[20:21], v3, off
.LBB25_79:
	s_or_b64 exec, exec, s[38:39]
	v_add_u32_e32 v3, 0xa00, v8
	v_cmp_gt_u32_e64 s[38:39], s73, v3
	v_lshlrev_b32_e32 v20, 2, v3
	s_and_saveexec_b64 s[40:41], s[38:39]
	s_cbranch_execz .LBB25_81
; %bb.80:
	v_sub_u32_e32 v3, v32, v2
	ds_read_b32 v3, v3 offset:10496
	v_mov_b32_e32 v21, 0
	s_waitcnt lgkmcnt(0)
	v_lshrrev_b32_e32 v5, s68, v3
	v_and_b32_e32 v5, s33, v5
	v_lshlrev_b32_e32 v5, 3, v5
	ds_read_b64 v[22:23], v5
	v_xor_b32_e32 v3, 0x80000000, v3
	s_waitcnt lgkmcnt(0)
	v_lshl_add_u64 v[22:23], v[22:23], 2, s[58:59]
	v_lshl_add_u64 v[22:23], v[22:23], 0, v[20:21]
	global_store_dword v[22:23], v3, off
.LBB25_81:
	;; [unrolled: 42-line block ×3, first 2 shown]
	s_or_b64 exec, exec, s[44:45]
	v_or_b32_e32 v3, 0x1000, v8
	v_cmp_gt_u32_e64 s[44:45], s73, v3
	v_lshlrev_b32_e32 v26, 2, v3
	s_and_saveexec_b64 s[46:47], s[44:45]
	s_cbranch_execz .LBB25_87
; %bb.86:
	v_sub_u32_e32 v3, v32, v2
	ds_read_b32 v3, v3 offset:16640
	v_mov_b32_e32 v27, 0
	s_waitcnt lgkmcnt(0)
	v_lshrrev_b32_e32 v5, s68, v3
	v_and_b32_e32 v5, s33, v5
	v_lshlrev_b32_e32 v5, 3, v5
	ds_read_b64 v[28:29], v5
	v_xor_b32_e32 v3, 0x80000000, v3
	s_waitcnt lgkmcnt(0)
	v_lshl_add_u64 v[28:29], v[28:29], 2, s[58:59]
	v_lshl_add_u64 v[28:29], v[28:29], 0, v[26:27]
	global_store_dword v[28:29], v3, off
.LBB25_87:
	s_or_b64 exec, exec, s[46:47]
	v_add_u32_e32 v3, 0x1200, v8
	v_cmp_gt_u32_e64 s[46:47], s73, v3
	v_lshlrev_b32_e32 v28, 2, v3
	s_and_saveexec_b64 s[48:49], s[46:47]
	s_cbranch_execz .LBB25_89
; %bb.88:
	ds_read_b32 v3, v2 offset:18688
	v_mov_b32_e32 v29, 0
	s_waitcnt lgkmcnt(0)
	v_lshrrev_b32_e32 v5, s68, v3
	v_and_b32_e32 v5, s33, v5
	v_lshlrev_b32_e32 v5, 3, v5
	ds_read_b64 v[30:31], v5
	v_xor_b32_e32 v3, 0x80000000, v3
	s_waitcnt lgkmcnt(0)
	v_lshl_add_u64 v[30:31], v[30:31], 2, s[58:59]
	v_lshl_add_u64 v[30:31], v[30:31], 0, v[28:29]
	global_store_dword v[30:31], v3, off
.LBB25_89:
	s_or_b64 exec, exec, s[48:49]
	v_or_b32_e32 v3, 0x1400, v8
	v_cmp_gt_u32_e64 s[48:49], s73, v3
	v_lshlrev_b32_e32 v30, 2, v3
	s_and_saveexec_b64 s[50:51], s[48:49]
	s_cbranch_execz .LBB25_91
; %bb.90:
	ds_read_b32 v3, v2 offset:20736
	v_mov_b32_e32 v31, 0
	s_waitcnt lgkmcnt(0)
	v_lshrrev_b32_e32 v5, s68, v3
	v_and_b32_e32 v5, s33, v5
	v_lshlrev_b32_e32 v5, 3, v5
	ds_read_b64 v[44:45], v5
	v_xor_b32_e32 v3, 0x80000000, v3
	s_waitcnt lgkmcnt(0)
	v_lshl_add_u64 v[44:45], v[44:45], 2, s[58:59]
	v_lshl_add_u64 v[44:45], v[44:45], 0, v[30:31]
	global_store_dword v[44:45], v3, off
.LBB25_91:
	s_or_b64 exec, exec, s[50:51]
	v_add_u32_e32 v3, 0x1600, v8
	v_cmp_gt_u32_e64 s[50:51], s73, v3
	v_lshlrev_b32_e32 v8, 2, v3
	s_and_saveexec_b64 s[74:75], s[50:51]
	s_cbranch_execz .LBB25_93
; %bb.92:
	ds_read_b32 v3, v2 offset:22784
	v_mov_b32_e32 v9, 0
	s_waitcnt lgkmcnt(0)
	v_lshrrev_b32_e32 v5, s68, v3
	v_and_b32_e32 v5, s33, v5
	v_lshlrev_b32_e32 v5, 3, v5
	ds_read_b64 v[44:45], v5
	v_xor_b32_e32 v3, 0x80000000, v3
	s_waitcnt lgkmcnt(0)
	v_lshl_add_u64 v[44:45], v[44:45], 2, s[58:59]
	v_lshl_add_u64 v[44:45], v[44:45], 0, v[8:9]
	global_store_dword v[44:45], v3, off
.LBB25_93:
	s_or_b64 exec, exec, s[74:75]
	s_add_u32 s70, s60, s70
	s_addc_u32 s71, s61, s71
	v_mov_b32_e32 v5, 0
	v_lshl_add_u64 v[44:45], s[70:71], 0, v[4:5]
	v_mov_b32_e32 v7, v5
	v_lshl_add_u64 v[4:5], v[44:45], 0, v[6:7]
                                        ; implicit-def: $vgpr3
	s_and_saveexec_b64 s[70:71], vcc
	s_xor_b64 s[70:71], exec, s[70:71]
	s_cbranch_execz .LBB25_105
; %bb.94:
	global_load_dword v3, v[4:5], off
	s_or_b64 exec, exec, s[70:71]
                                        ; implicit-def: $vgpr6
	s_and_saveexec_b64 s[70:71], s[52:53]
	s_cbranch_execnz .LBB25_106
.LBB25_95:
	s_or_b64 exec, exec, s[70:71]
                                        ; implicit-def: $vgpr7
	s_and_saveexec_b64 s[52:53], s[4:5]
	s_cbranch_execz .LBB25_107
.LBB25_96:
	global_load_dword v7, v[4:5], off offset:512
	s_or_b64 exec, exec, s[52:53]
                                        ; implicit-def: $vgpr9
	s_and_saveexec_b64 s[4:5], s[6:7]
	s_cbranch_execnz .LBB25_108
.LBB25_97:
	s_or_b64 exec, exec, s[4:5]
                                        ; implicit-def: $vgpr15
	s_and_saveexec_b64 s[4:5], s[8:9]
	s_cbranch_execz .LBB25_109
.LBB25_98:
	global_load_dword v15, v[4:5], off offset:1024
	s_or_b64 exec, exec, s[4:5]
                                        ; implicit-def: $vgpr17
	s_and_saveexec_b64 s[4:5], s[10:11]
	s_cbranch_execnz .LBB25_110
.LBB25_99:
	s_or_b64 exec, exec, s[4:5]
                                        ; implicit-def: $vgpr19
	s_and_saveexec_b64 s[4:5], s[12:13]
	s_cbranch_execz .LBB25_111
.LBB25_100:
	global_load_dword v19, v[4:5], off offset:1536
	s_or_b64 exec, exec, s[4:5]
                                        ; implicit-def: $vgpr21
	s_and_saveexec_b64 s[4:5], s[14:15]
	s_cbranch_execnz .LBB25_112
.LBB25_101:
	s_or_b64 exec, exec, s[4:5]
                                        ; implicit-def: $vgpr23
	s_and_saveexec_b64 s[4:5], s[16:17]
	s_cbranch_execz .LBB25_113
.LBB25_102:
	global_load_dword v23, v[4:5], off offset:2048
	s_or_b64 exec, exec, s[4:5]
                                        ; implicit-def: $vgpr44
	s_and_saveexec_b64 s[4:5], s[18:19]
	s_cbranch_execnz .LBB25_114
.LBB25_103:
	s_or_b64 exec, exec, s[4:5]
                                        ; implicit-def: $vgpr48
	s_and_saveexec_b64 s[4:5], s[20:21]
	s_cbranch_execz .LBB25_115
.LBB25_104:
	global_load_dword v48, v[4:5], off offset:2560
	s_or_b64 exec, exec, s[4:5]
                                        ; implicit-def: $vgpr51
	s_and_saveexec_b64 s[4:5], s[22:23]
	s_cbranch_execnz .LBB25_116
	s_branch .LBB25_117
.LBB25_105:
	s_or_b64 exec, exec, s[70:71]
                                        ; implicit-def: $vgpr6
	s_and_saveexec_b64 s[70:71], s[52:53]
	s_cbranch_execz .LBB25_95
.LBB25_106:
	global_load_dword v6, v[4:5], off offset:256
	s_or_b64 exec, exec, s[70:71]
                                        ; implicit-def: $vgpr7
	s_and_saveexec_b64 s[52:53], s[4:5]
	s_cbranch_execnz .LBB25_96
.LBB25_107:
	s_or_b64 exec, exec, s[52:53]
                                        ; implicit-def: $vgpr9
	s_and_saveexec_b64 s[4:5], s[6:7]
	s_cbranch_execz .LBB25_97
.LBB25_108:
	global_load_dword v9, v[4:5], off offset:768
	s_or_b64 exec, exec, s[4:5]
                                        ; implicit-def: $vgpr15
	s_and_saveexec_b64 s[4:5], s[8:9]
	s_cbranch_execnz .LBB25_98
.LBB25_109:
	s_or_b64 exec, exec, s[4:5]
                                        ; implicit-def: $vgpr17
	s_and_saveexec_b64 s[4:5], s[10:11]
	s_cbranch_execz .LBB25_99
.LBB25_110:
	global_load_dword v17, v[4:5], off offset:1280
	s_or_b64 exec, exec, s[4:5]
                                        ; implicit-def: $vgpr19
	s_and_saveexec_b64 s[4:5], s[12:13]
	s_cbranch_execnz .LBB25_100
.LBB25_111:
	s_or_b64 exec, exec, s[4:5]
                                        ; implicit-def: $vgpr21
	s_and_saveexec_b64 s[4:5], s[14:15]
	s_cbranch_execz .LBB25_101
.LBB25_112:
	global_load_dword v21, v[4:5], off offset:1792
	s_or_b64 exec, exec, s[4:5]
                                        ; implicit-def: $vgpr23
	s_and_saveexec_b64 s[4:5], s[16:17]
	s_cbranch_execnz .LBB25_102
.LBB25_113:
	s_or_b64 exec, exec, s[4:5]
                                        ; implicit-def: $vgpr44
	s_and_saveexec_b64 s[4:5], s[18:19]
	s_cbranch_execz .LBB25_103
.LBB25_114:
	global_load_dword v44, v[4:5], off offset:2304
	s_or_b64 exec, exec, s[4:5]
                                        ; implicit-def: $vgpr48
	s_and_saveexec_b64 s[4:5], s[20:21]
	s_cbranch_execnz .LBB25_104
.LBB25_115:
	s_or_b64 exec, exec, s[4:5]
                                        ; implicit-def: $vgpr51
	s_and_saveexec_b64 s[4:5], s[22:23]
	s_cbranch_execz .LBB25_117
.LBB25_116:
	global_load_dword v51, v[4:5], off offset:2816
.LBB25_117:
	s_or_b64 exec, exec, s[4:5]
	v_mov_b32_e32 v47, 0
	v_mov_b32_e32 v52, 0
	s_and_saveexec_b64 s[4:5], s[26:27]
	s_cbranch_execz .LBB25_119
; %bb.118:
	ds_read_b32 v4, v2 offset:256
	s_waitcnt lgkmcnt(0)
	v_lshrrev_b32_e32 v4, s68, v4
	v_and_b32_e32 v52, s33, v4
.LBB25_119:
	s_or_b64 exec, exec, s[4:5]
	s_and_saveexec_b64 s[4:5], s[28:29]
	s_cbranch_execz .LBB25_121
; %bb.120:
	ds_read_b32 v4, v2 offset:2304
	s_waitcnt lgkmcnt(0)
	v_lshrrev_b32_e32 v4, s68, v4
	v_and_b32_e32 v47, s33, v4
.LBB25_121:
	s_or_b64 exec, exec, s[4:5]
	v_mov_b32_e32 v45, 0
	v_mov_b32_e32 v50, 0
	s_and_saveexec_b64 s[4:5], s[30:31]
	s_cbranch_execz .LBB25_123
; %bb.122:
	ds_read_b32 v4, v2 offset:4352
	s_waitcnt lgkmcnt(0)
	v_lshrrev_b32_e32 v4, s68, v4
	v_and_b32_e32 v50, s33, v4
.LBB25_123:
	s_or_b64 exec, exec, s[4:5]
	s_and_saveexec_b64 s[4:5], s[34:35]
	s_cbranch_execz .LBB25_125
; %bb.124:
	ds_read_b32 v4, v2 offset:6400
	s_waitcnt lgkmcnt(0)
	v_lshrrev_b32_e32 v4, s68, v4
	v_and_b32_e32 v45, s33, v4
.LBB25_125:
	;; [unrolled: 20-line block ×6, first 2 shown]
	s_or_b64 exec, exec, s[4:5]
	s_barrier
	s_waitcnt vmcnt(0)
	ds_write_b32 v13, v3 offset:256
	ds_write_b32 v34, v6 offset:256
	;; [unrolled: 1-line block ×12, first 2 shown]
	s_waitcnt lgkmcnt(0)
	s_barrier
	s_and_saveexec_b64 s[4:5], s[26:27]
	s_cbranch_execz .LBB25_153
; %bb.142:
	v_lshlrev_b32_e32 v3, 3, v52
	ds_read_b64 v[6:7], v3
	ds_read_b32 v9, v2 offset:256
	v_mov_b32_e32 v3, 0
	s_waitcnt lgkmcnt(1)
	v_lshl_add_u64 v[6:7], v[6:7], 2, s[62:63]
	v_lshl_add_u64 v[6:7], v[6:7], 0, v[2:3]
	s_waitcnt lgkmcnt(0)
	global_store_dword v[6:7], v9, off
	s_or_b64 exec, exec, s[4:5]
	s_and_saveexec_b64 s[4:5], s[28:29]
	s_cbranch_execnz .LBB25_154
.LBB25_143:
	s_or_b64 exec, exec, s[4:5]
	s_and_saveexec_b64 s[4:5], s[30:31]
	s_cbranch_execz .LBB25_155
.LBB25_144:
	v_lshlrev_b32_e32 v3, 3, v50
	ds_read_b64 v[6:7], v3
	ds_read_b32 v3, v2 offset:4352
	v_mov_b32_e32 v15, 0
	s_waitcnt lgkmcnt(1)
	v_lshl_add_u64 v[6:7], v[6:7], 2, s[62:63]
	v_lshl_add_u64 v[6:7], v[6:7], 0, v[14:15]
	s_waitcnt lgkmcnt(0)
	global_store_dword v[6:7], v3, off
	s_or_b64 exec, exec, s[4:5]
	s_and_saveexec_b64 s[4:5], s[34:35]
	s_cbranch_execnz .LBB25_156
.LBB25_145:
	s_or_b64 exec, exec, s[4:5]
	s_and_saveexec_b64 s[4:5], s[36:37]
	s_cbranch_execz .LBB25_157
.LBB25_146:
	v_lshlrev_b32_e32 v3, 3, v49
	ds_read_b64 v[6:7], v3
	ds_read_b32 v3, v2 offset:8448
	v_mov_b32_e32 v19, 0
	s_waitcnt lgkmcnt(1)
	v_lshl_add_u64 v[6:7], v[6:7], 2, s[62:63]
	v_lshl_add_u64 v[6:7], v[6:7], 0, v[18:19]
	s_waitcnt lgkmcnt(0)
	global_store_dword v[6:7], v3, off
	s_or_b64 exec, exec, s[4:5]
	s_and_saveexec_b64 s[4:5], s[38:39]
	s_cbranch_execnz .LBB25_158
.LBB25_147:
	s_or_b64 exec, exec, s[4:5]
	s_and_saveexec_b64 s[4:5], s[40:41]
	s_cbranch_execz .LBB25_159
.LBB25_148:
	v_lshlrev_b32_e32 v3, 3, v46
	ds_read_b64 v[6:7], v3
	ds_read_b32 v3, v2 offset:12544
	v_mov_b32_e32 v23, 0
	s_waitcnt lgkmcnt(1)
	v_lshl_add_u64 v[6:7], v[6:7], 2, s[62:63]
	v_lshl_add_u64 v[6:7], v[6:7], 0, v[22:23]
	s_waitcnt lgkmcnt(0)
	global_store_dword v[6:7], v3, off
	s_or_b64 exec, exec, s[4:5]
	s_and_saveexec_b64 s[4:5], s[42:43]
	s_cbranch_execnz .LBB25_160
.LBB25_149:
	s_or_b64 exec, exec, s[4:5]
	s_and_saveexec_b64 s[4:5], s[44:45]
	s_cbranch_execz .LBB25_161
.LBB25_150:
	v_lshlrev_b32_e32 v3, 3, v29
	ds_read_b64 v[6:7], v3
	ds_read_b32 v3, v2 offset:16640
	v_mov_b32_e32 v27, 0
	s_waitcnt lgkmcnt(1)
	v_lshl_add_u64 v[6:7], v[6:7], 2, s[62:63]
	v_lshl_add_u64 v[6:7], v[6:7], 0, v[26:27]
	s_waitcnt lgkmcnt(0)
	global_store_dword v[6:7], v3, off
	s_or_b64 exec, exec, s[4:5]
	s_and_saveexec_b64 s[4:5], s[46:47]
	s_cbranch_execnz .LBB25_162
.LBB25_151:
	s_or_b64 exec, exec, s[4:5]
	s_and_saveexec_b64 s[4:5], s[48:49]
	s_cbranch_execz .LBB25_163
.LBB25_152:
	v_lshlrev_b32_e32 v3, 3, v31
	ds_read_b64 v[6:7], v3
	ds_read_b32 v3, v2 offset:20736
	v_mov_b32_e32 v31, 0
	s_waitcnt lgkmcnt(1)
	v_lshl_add_u64 v[6:7], v[6:7], 2, s[62:63]
	v_lshl_add_u64 v[6:7], v[6:7], 0, v[30:31]
	s_waitcnt lgkmcnt(0)
	global_store_dword v[6:7], v3, off
	s_or_b64 exec, exec, s[4:5]
	s_and_saveexec_b64 s[4:5], s[50:51]
	s_cbranch_execnz .LBB25_164
	s_branch .LBB25_165
.LBB25_153:
	s_or_b64 exec, exec, s[4:5]
	s_and_saveexec_b64 s[4:5], s[28:29]
	s_cbranch_execz .LBB25_143
.LBB25_154:
	v_lshlrev_b32_e32 v3, 3, v47
	ds_read_b64 v[6:7], v3
	ds_read_b32 v9, v2 offset:2304
	v_mov_b32_e32 v3, 0
	s_waitcnt lgkmcnt(1)
	v_lshl_add_u64 v[6:7], v[6:7], 2, s[62:63]
	v_lshl_add_u64 v[6:7], v[6:7], 0, v[2:3]
	s_waitcnt lgkmcnt(0)
	global_store_dword v[6:7], v9, off offset:2048
	s_or_b64 exec, exec, s[4:5]
	s_and_saveexec_b64 s[4:5], s[30:31]
	s_cbranch_execnz .LBB25_144
.LBB25_155:
	s_or_b64 exec, exec, s[4:5]
	s_and_saveexec_b64 s[4:5], s[34:35]
	s_cbranch_execz .LBB25_145
.LBB25_156:
	v_lshlrev_b32_e32 v3, 3, v45
	ds_read_b64 v[6:7], v3
	ds_read_b32 v3, v2 offset:6400
	v_mov_b32_e32 v17, 0
	s_waitcnt lgkmcnt(1)
	v_lshl_add_u64 v[6:7], v[6:7], 2, s[62:63]
	v_lshl_add_u64 v[6:7], v[6:7], 0, v[16:17]
	s_waitcnt lgkmcnt(0)
	global_store_dword v[6:7], v3, off
	s_or_b64 exec, exec, s[4:5]
	s_and_saveexec_b64 s[4:5], s[36:37]
	s_cbranch_execnz .LBB25_146
.LBB25_157:
	s_or_b64 exec, exec, s[4:5]
	s_and_saveexec_b64 s[4:5], s[38:39]
	s_cbranch_execz .LBB25_147
.LBB25_158:
	v_lshlrev_b32_e32 v3, 3, v27
	ds_read_b64 v[6:7], v3
	ds_read_b32 v3, v2 offset:10496
	v_mov_b32_e32 v21, 0
	s_waitcnt lgkmcnt(1)
	v_lshl_add_u64 v[6:7], v[6:7], 2, s[62:63]
	v_lshl_add_u64 v[6:7], v[6:7], 0, v[20:21]
	s_waitcnt lgkmcnt(0)
	global_store_dword v[6:7], v3, off
	s_or_b64 exec, exec, s[4:5]
	s_and_saveexec_b64 s[4:5], s[40:41]
	s_cbranch_execnz .LBB25_148
.LBB25_159:
	s_or_b64 exec, exec, s[4:5]
	s_and_saveexec_b64 s[4:5], s[42:43]
	s_cbranch_execz .LBB25_149
.LBB25_160:
	v_lshlrev_b32_e32 v3, 3, v25
	ds_read_b64 v[6:7], v3
	ds_read_b32 v3, v2 offset:14592
	v_mov_b32_e32 v25, 0
	s_waitcnt lgkmcnt(1)
	v_lshl_add_u64 v[6:7], v[6:7], 2, s[62:63]
	v_lshl_add_u64 v[6:7], v[6:7], 0, v[24:25]
	s_waitcnt lgkmcnt(0)
	global_store_dword v[6:7], v3, off
	s_or_b64 exec, exec, s[4:5]
	s_and_saveexec_b64 s[4:5], s[44:45]
	s_cbranch_execnz .LBB25_150
.LBB25_161:
	s_or_b64 exec, exec, s[4:5]
	s_and_saveexec_b64 s[4:5], s[46:47]
	s_cbranch_execz .LBB25_151
.LBB25_162:
	v_lshlrev_b32_e32 v3, 3, v5
	ds_read_b64 v[6:7], v3
	ds_read_b32 v3, v2 offset:18688
	v_mov_b32_e32 v29, 0
	s_waitcnt lgkmcnt(1)
	v_lshl_add_u64 v[6:7], v[6:7], 2, s[62:63]
	v_lshl_add_u64 v[6:7], v[6:7], 0, v[28:29]
	s_waitcnt lgkmcnt(0)
	global_store_dword v[6:7], v3, off
	s_or_b64 exec, exec, s[4:5]
	s_and_saveexec_b64 s[4:5], s[48:49]
	s_cbranch_execnz .LBB25_152
.LBB25_163:
	s_or_b64 exec, exec, s[4:5]
	s_and_saveexec_b64 s[4:5], s[50:51]
	s_cbranch_execz .LBB25_165
.LBB25_164:
	v_lshlrev_b32_e32 v3, 3, v4
	ds_read_b64 v[4:5], v3
	ds_read_b32 v6, v2 offset:22784
	v_mov_b32_e32 v9, 0
	s_waitcnt lgkmcnt(1)
	v_lshl_add_u64 v[2:3], v[4:5], 2, s[62:63]
	v_lshl_add_u64 v[2:3], v[2:3], 0, v[8:9]
	s_waitcnt lgkmcnt(0)
	global_store_dword v[2:3], v6, off
.LBB25_165:
	s_or_b64 exec, exec, s[4:5]
	s_add_i32 s3, s3, -1
	s_cmp_eq_u32 s2, s3
	s_cselect_b64 s[4:5], -1, 0
	s_xor_b64 s[6:7], s[24:25], -1
	s_and_b64 s[6:7], s[6:7], s[4:5]
	s_and_saveexec_b64 s[4:5], s[6:7]
	s_cbranch_execz .LBB25_167
; %bb.166:
	ds_read_b64 v[2:3], v32
	v_mov_b32_e32 v13, 0
	v_lshl_add_u64 v[4:5], v[10:11], 0, v[12:13]
	s_waitcnt lgkmcnt(0)
	v_lshl_add_u64 v[2:3], v[4:5], 0, v[2:3]
	global_store_dwordx2 v32, v[2:3], s[66:67]
.LBB25_167:
	s_or_b64 exec, exec, s[4:5]
	s_mov_b64 s[4:5], 0
.LBB25_168:
	s_and_b64 vcc, exec, s[4:5]
	s_cbranch_vccz .LBB25_215
; %bb.169:
	s_mov_b32 s73, 0
	s_lshl_b64 s[10:11], s[72:73], 2
	s_add_u32 s4, s56, s10
	v_mov_b32_e32 v9, 0
	v_mbcnt_hi_u32_b32 v1, -1, v1
	v_and_b32_e32 v7, 0x1c0, v0
	s_addc_u32 s5, s57, s11
	v_mul_u32_u24_e32 v4, 12, v7
	v_lshlrev_b32_e32 v2, 2, v1
	v_mov_b32_e32 v3, v9
	v_lshl_add_u64 v[10:11], s[4:5], 0, v[2:3]
	v_lshlrev_b32_e32 v4, 2, v4
	v_mov_b32_e32 v5, v9
	v_lshl_add_u64 v[10:11], v[10:11], 0, v[4:5]
	global_load_dword v3, v[10:11], off
	s_load_dword s4, s[0:1], 0x5c
	s_load_dword s3, s[0:1], 0x50
	s_add_u32 s0, s0, 0x50
	s_addc_u32 s1, s1, 0
	v_bfe_u32 v8, v0, 10, 10
	s_waitcnt lgkmcnt(0)
	s_lshr_b32 s4, s4, 16
	s_cmp_lt_u32 s2, s3
	s_cselect_b32 s5, 12, 18
	s_add_u32 s0, s0, s5
	s_addc_u32 s1, s1, 0
	global_load_ushort v5, v9, s[0:1]
	global_load_dword v12, v[10:11], off offset:256
	global_load_dword v17, v[10:11], off offset:512
	;; [unrolled: 1-line block ×11, first 2 shown]
	v_bfe_u32 v11, v0, 20, 10
	v_mad_u32_u24 v13, v11, s4, v8
	s_lshl_b32 s0, -1, s69
	v_and_b32_e32 v6, 0x3ff, v0
	v_mov_b32_e32 v10, v9
	v_mov_b32_e32 v14, v9
	s_not_b32 s14, s0
	v_mov_b32_e32 v22, v9
	v_mov_b32_e32 v28, v9
	v_lshlrev_b32_e32 v0, 2, v6
	ds_write_b32 v0, v9 offset:32
	s_waitcnt lgkmcnt(0)
	s_barrier
	s_waitcnt vmcnt(12)
	; wave barrier
	v_xor_b32_e32 v3, 0x80000000, v3
	v_lshrrev_b32_e32 v8, s68, v3
	v_bitop3_b32 v16, v8, s0, v8 bitop3:0x30
	v_and_b32_e32 v8, 1, v16
	v_lshlrev_b32_e32 v11, 30, v16
	v_lshlrev_b32_e32 v15, 29, v16
	s_waitcnt vmcnt(11)
	v_mad_u64_u32 v[38:39], s[0:1], v13, v5, v[6:7]
	v_lshl_add_u64 v[42:43], v[8:9], 0, -1
	v_cmp_ne_u32_e32 vcc, 0, v8
	v_not_b32_e32 v5, v11
	v_lshlrev_b32_e32 v23, 28, v16
	v_lshlrev_b32_e32 v29, 27, v16
	v_cmp_gt_i64_e64 s[0:1], 0, v[10:11]
	v_cmp_gt_i64_e64 s[4:5], 0, v[14:15]
	v_not_b32_e32 v8, v15
	v_xor_b32_e32 v15, vcc_lo, v42
	v_ashrrev_i32_e32 v5, 31, v5
	v_mul_lo_u32 v18, v16, 36
	v_not_b32_e32 v10, v23
	v_not_b32_e32 v11, v29
	v_lshrrev_b32_e32 v25, 6, v38
	v_xor_b32_e32 v13, vcc_hi, v43
	v_ashrrev_i32_e32 v8, 31, v8
	v_and_b32_e32 v15, exec_lo, v15
	v_xor_b32_e32 v16, s1, v5
	v_xor_b32_e32 v5, s0, v5
	v_cmp_gt_i64_e64 s[6:7], 0, v[22:23]
	v_cmp_gt_i64_e64 s[8:9], 0, v[28:29]
	v_ashrrev_i32_e32 v10, 31, v10
	v_ashrrev_i32_e32 v11, 31, v11
	v_lshl_add_u32 v14, v25, 2, v18
	v_and_b32_e32 v13, exec_hi, v13
	v_xor_b32_e32 v18, s5, v8
	v_xor_b32_e32 v8, s4, v8
	v_and_b32_e32 v5, v15, v5
	v_xor_b32_e32 v20, s7, v10
	v_xor_b32_e32 v10, s6, v10
	v_xor_b32_e32 v22, s9, v11
	v_xor_b32_e32 v23, s8, v11
	v_and_b32_e32 v11, v13, v16
	v_and_b32_e32 v5, v5, v8
	;; [unrolled: 1-line block ×7, first 2 shown]
	v_mbcnt_lo_u32_b32 v5, v10, 0
	v_mbcnt_hi_u32_b32 v5, v11, v5
	v_cmp_eq_u32_e32 vcc, 0, v5
	v_cmp_ne_u64_e64 s[0:1], 0, v[10:11]
	s_and_b64 s[4:5], s[0:1], vcc
	s_and_saveexec_b64 s[0:1], s[4:5]
; %bb.170:
	v_bcnt_u32_b32 v8, v10, 0
	v_bcnt_u32_b32 v8, v11, v8
	ds_write_b32 v14, v8 offset:32
; %bb.171:
	s_or_b64 exec, exec, s[0:1]
	s_waitcnt vmcnt(10)
	v_xor_b32_e32 v12, 0x80000000, v12
	v_lshrrev_b32_e32 v8, s68, v12
	v_and_b32_e32 v15, s14, v8
	v_mul_lo_u32 v8, v15, 36
	v_lshl_add_u32 v16, v25, 2, v8
	v_and_b32_e32 v8, 1, v15
	v_lshl_add_u64 v[10:11], v[8:9], 0, -1
	v_cmp_ne_u32_e32 vcc, 0, v8
	; wave barrier
	s_nop 1
	v_xor_b32_e32 v10, vcc_lo, v10
	v_xor_b32_e32 v8, vcc_hi, v11
	v_and_b32_e32 v18, exec_lo, v10
	v_lshlrev_b32_e32 v11, 30, v15
	v_mov_b32_e32 v10, v9
	v_cmp_gt_i64_e32 vcc, 0, v[10:11]
	v_not_b32_e32 v10, v11
	v_ashrrev_i32_e32 v10, 31, v10
	v_and_b32_e32 v8, exec_hi, v8
	v_xor_b32_e32 v11, vcc_hi, v10
	v_xor_b32_e32 v10, vcc_lo, v10
	v_and_b32_e32 v8, v8, v11
	v_and_b32_e32 v18, v18, v10
	v_lshlrev_b32_e32 v11, 29, v15
	v_mov_b32_e32 v10, v9
	v_cmp_gt_i64_e32 vcc, 0, v[10:11]
	v_not_b32_e32 v10, v11
	v_ashrrev_i32_e32 v10, 31, v10
	v_xor_b32_e32 v11, vcc_hi, v10
	v_xor_b32_e32 v10, vcc_lo, v10
	v_and_b32_e32 v8, v8, v11
	v_and_b32_e32 v18, v18, v10
	v_lshlrev_b32_e32 v11, 28, v15
	v_mov_b32_e32 v10, v9
	v_cmp_gt_i64_e32 vcc, 0, v[10:11]
	v_not_b32_e32 v10, v11
	v_ashrrev_i32_e32 v10, 31, v10
	v_xor_b32_e32 v11, vcc_hi, v10
	v_xor_b32_e32 v10, vcc_lo, v10
	v_and_b32_e32 v8, v8, v11
	v_lshlrev_b32_e32 v11, 27, v15
	v_and_b32_e32 v18, v18, v10
	v_mov_b32_e32 v10, v9
	v_not_b32_e32 v9, v11
	v_cmp_gt_i64_e32 vcc, 0, v[10:11]
	v_ashrrev_i32_e32 v9, 31, v9
	ds_read_b32 v13, v16 offset:32
	v_xor_b32_e32 v10, vcc_hi, v9
	v_xor_b32_e32 v11, vcc_lo, v9
	v_and_b32_e32 v9, v8, v10
	v_and_b32_e32 v8, v18, v11
	v_mbcnt_lo_u32_b32 v10, v8, 0
	v_mbcnt_hi_u32_b32 v15, v9, v10
	v_cmp_eq_u32_e32 vcc, 0, v15
	v_cmp_ne_u64_e64 s[0:1], 0, v[8:9]
	s_and_b64 s[4:5], s[0:1], vcc
	; wave barrier
	s_and_saveexec_b64 s[0:1], s[4:5]
	s_cbranch_execz .LBB25_173
; %bb.172:
	v_bcnt_u32_b32 v8, v8, 0
	v_bcnt_u32_b32 v8, v9, v8
	s_waitcnt lgkmcnt(0)
	v_add_u32_e32 v8, v13, v8
	ds_write_b32 v16, v8 offset:32
.LBB25_173:
	s_or_b64 exec, exec, s[0:1]
	s_waitcnt vmcnt(9)
	v_xor_b32_e32 v17, 0x80000000, v17
	v_lshrrev_b32_e32 v8, s68, v17
	v_and_b32_e32 v20, s14, v8
	v_mul_lo_u32 v8, v20, 36
	v_lshl_add_u32 v22, v25, 2, v8
	v_and_b32_e32 v8, 1, v20
	v_mov_b32_e32 v9, 0
	v_lshl_add_u64 v[10:11], v[8:9], 0, -1
	v_cmp_ne_u32_e32 vcc, 0, v8
	; wave barrier
	s_nop 1
	v_xor_b32_e32 v10, vcc_lo, v10
	v_xor_b32_e32 v8, vcc_hi, v11
	v_and_b32_e32 v23, exec_lo, v10
	v_lshlrev_b32_e32 v11, 30, v20
	v_mov_b32_e32 v10, v9
	v_cmp_gt_i64_e32 vcc, 0, v[10:11]
	v_not_b32_e32 v10, v11
	v_ashrrev_i32_e32 v10, 31, v10
	v_and_b32_e32 v8, exec_hi, v8
	v_xor_b32_e32 v11, vcc_hi, v10
	v_xor_b32_e32 v10, vcc_lo, v10
	v_and_b32_e32 v8, v8, v11
	v_and_b32_e32 v23, v23, v10
	v_lshlrev_b32_e32 v11, 29, v20
	v_mov_b32_e32 v10, v9
	v_cmp_gt_i64_e32 vcc, 0, v[10:11]
	v_not_b32_e32 v10, v11
	v_ashrrev_i32_e32 v10, 31, v10
	v_xor_b32_e32 v11, vcc_hi, v10
	v_xor_b32_e32 v10, vcc_lo, v10
	v_and_b32_e32 v8, v8, v11
	v_and_b32_e32 v23, v23, v10
	v_lshlrev_b32_e32 v11, 28, v20
	v_mov_b32_e32 v10, v9
	v_cmp_gt_i64_e32 vcc, 0, v[10:11]
	v_not_b32_e32 v10, v11
	v_ashrrev_i32_e32 v10, 31, v10
	v_xor_b32_e32 v11, vcc_hi, v10
	v_xor_b32_e32 v10, vcc_lo, v10
	v_and_b32_e32 v8, v8, v11
	v_and_b32_e32 v23, v23, v10
	v_lshlrev_b32_e32 v11, 27, v20
	v_mov_b32_e32 v10, v9
	v_cmp_gt_i64_e32 vcc, 0, v[10:11]
	v_not_b32_e32 v10, v11
	v_ashrrev_i32_e32 v10, 31, v10
	v_xor_b32_e32 v11, vcc_hi, v10
	v_xor_b32_e32 v10, vcc_lo, v10
	ds_read_b32 v18, v22 offset:32
	v_and_b32_e32 v10, v23, v10
	v_and_b32_e32 v11, v8, v11
	v_mbcnt_lo_u32_b32 v8, v10, 0
	v_mbcnt_hi_u32_b32 v20, v11, v8
	v_cmp_eq_u32_e32 vcc, 0, v20
	v_cmp_ne_u64_e64 s[0:1], 0, v[10:11]
	s_and_b64 s[4:5], s[0:1], vcc
	; wave barrier
	s_and_saveexec_b64 s[0:1], s[4:5]
	s_cbranch_execz .LBB25_175
; %bb.174:
	v_bcnt_u32_b32 v8, v10, 0
	v_bcnt_u32_b32 v8, v11, v8
	s_waitcnt lgkmcnt(0)
	v_add_u32_e32 v8, v18, v8
	ds_write_b32 v22, v8 offset:32
.LBB25_175:
	s_or_b64 exec, exec, s[0:1]
	s_waitcnt vmcnt(8)
	v_xor_b32_e32 v21, 0x80000000, v21
	v_lshrrev_b32_e32 v8, s68, v21
	v_and_b32_e32 v26, s14, v8
	v_mul_lo_u32 v8, v26, 36
	v_lshl_add_u32 v28, v25, 2, v8
	v_and_b32_e32 v8, 1, v26
	v_lshl_add_u64 v[10:11], v[8:9], 0, -1
	v_cmp_ne_u32_e32 vcc, 0, v8
	; wave barrier
	s_nop 1
	v_xor_b32_e32 v10, vcc_lo, v10
	v_xor_b32_e32 v8, vcc_hi, v11
	v_and_b32_e32 v29, exec_lo, v10
	v_lshlrev_b32_e32 v11, 30, v26
	v_mov_b32_e32 v10, v9
	v_cmp_gt_i64_e32 vcc, 0, v[10:11]
	v_not_b32_e32 v10, v11
	v_ashrrev_i32_e32 v10, 31, v10
	v_and_b32_e32 v8, exec_hi, v8
	v_xor_b32_e32 v11, vcc_hi, v10
	v_xor_b32_e32 v10, vcc_lo, v10
	v_and_b32_e32 v8, v8, v11
	v_and_b32_e32 v29, v29, v10
	v_lshlrev_b32_e32 v11, 29, v26
	v_mov_b32_e32 v10, v9
	v_cmp_gt_i64_e32 vcc, 0, v[10:11]
	v_not_b32_e32 v10, v11
	v_ashrrev_i32_e32 v10, 31, v10
	v_xor_b32_e32 v11, vcc_hi, v10
	v_xor_b32_e32 v10, vcc_lo, v10
	v_and_b32_e32 v8, v8, v11
	v_and_b32_e32 v29, v29, v10
	v_lshlrev_b32_e32 v11, 28, v26
	v_mov_b32_e32 v10, v9
	v_cmp_gt_i64_e32 vcc, 0, v[10:11]
	v_not_b32_e32 v10, v11
	v_ashrrev_i32_e32 v10, 31, v10
	v_xor_b32_e32 v11, vcc_hi, v10
	v_xor_b32_e32 v10, vcc_lo, v10
	v_and_b32_e32 v8, v8, v11
	v_lshlrev_b32_e32 v11, 27, v26
	v_and_b32_e32 v29, v29, v10
	v_mov_b32_e32 v10, v9
	v_not_b32_e32 v9, v11
	v_cmp_gt_i64_e32 vcc, 0, v[10:11]
	v_ashrrev_i32_e32 v9, 31, v9
	ds_read_b32 v23, v28 offset:32
	v_xor_b32_e32 v10, vcc_hi, v9
	v_xor_b32_e32 v11, vcc_lo, v9
	v_and_b32_e32 v9, v8, v10
	v_and_b32_e32 v8, v29, v11
	v_mbcnt_lo_u32_b32 v10, v8, 0
	v_mbcnt_hi_u32_b32 v26, v9, v10
	v_cmp_eq_u32_e32 vcc, 0, v26
	v_cmp_ne_u64_e64 s[0:1], 0, v[8:9]
	s_and_b64 s[4:5], s[0:1], vcc
	; wave barrier
	s_and_saveexec_b64 s[0:1], s[4:5]
	s_cbranch_execz .LBB25_177
; %bb.176:
	v_bcnt_u32_b32 v8, v8, 0
	v_bcnt_u32_b32 v8, v9, v8
	s_waitcnt lgkmcnt(0)
	v_add_u32_e32 v8, v23, v8
	ds_write_b32 v28, v8 offset:32
.LBB25_177:
	s_or_b64 exec, exec, s[0:1]
	s_waitcnt vmcnt(7)
	v_xor_b32_e32 v27, 0x80000000, v27
	v_lshrrev_b32_e32 v8, s68, v27
	v_and_b32_e32 v31, s14, v8
	v_mul_lo_u32 v8, v31, 36
	v_lshl_add_u32 v33, v25, 2, v8
	v_and_b32_e32 v8, 1, v31
	v_mov_b32_e32 v9, 0
	v_lshl_add_u64 v[10:11], v[8:9], 0, -1
	v_cmp_ne_u32_e32 vcc, 0, v8
	; wave barrier
	s_nop 1
	v_xor_b32_e32 v10, vcc_lo, v10
	v_xor_b32_e32 v8, vcc_hi, v11
	v_and_b32_e32 v34, exec_lo, v10
	v_lshlrev_b32_e32 v11, 30, v31
	v_mov_b32_e32 v10, v9
	v_cmp_gt_i64_e32 vcc, 0, v[10:11]
	v_not_b32_e32 v10, v11
	v_ashrrev_i32_e32 v10, 31, v10
	v_and_b32_e32 v8, exec_hi, v8
	v_xor_b32_e32 v11, vcc_hi, v10
	v_xor_b32_e32 v10, vcc_lo, v10
	v_and_b32_e32 v8, v8, v11
	v_and_b32_e32 v34, v34, v10
	v_lshlrev_b32_e32 v11, 29, v31
	v_mov_b32_e32 v10, v9
	v_cmp_gt_i64_e32 vcc, 0, v[10:11]
	v_not_b32_e32 v10, v11
	v_ashrrev_i32_e32 v10, 31, v10
	v_xor_b32_e32 v11, vcc_hi, v10
	v_xor_b32_e32 v10, vcc_lo, v10
	v_and_b32_e32 v8, v8, v11
	v_and_b32_e32 v34, v34, v10
	v_lshlrev_b32_e32 v11, 28, v31
	v_mov_b32_e32 v10, v9
	v_cmp_gt_i64_e32 vcc, 0, v[10:11]
	v_not_b32_e32 v10, v11
	v_ashrrev_i32_e32 v10, 31, v10
	;; [unrolled: 9-line block ×3, first 2 shown]
	v_xor_b32_e32 v11, vcc_hi, v10
	v_xor_b32_e32 v10, vcc_lo, v10
	ds_read_b32 v29, v33 offset:32
	v_and_b32_e32 v10, v34, v10
	v_and_b32_e32 v11, v8, v11
	v_mbcnt_lo_u32_b32 v8, v10, 0
	v_mbcnt_hi_u32_b32 v31, v11, v8
	v_cmp_eq_u32_e32 vcc, 0, v31
	v_cmp_ne_u64_e64 s[0:1], 0, v[10:11]
	s_and_b64 s[4:5], s[0:1], vcc
	; wave barrier
	s_and_saveexec_b64 s[0:1], s[4:5]
	s_cbranch_execz .LBB25_179
; %bb.178:
	v_bcnt_u32_b32 v8, v10, 0
	v_bcnt_u32_b32 v8, v11, v8
	s_waitcnt lgkmcnt(0)
	v_add_u32_e32 v8, v29, v8
	ds_write_b32 v33, v8 offset:32
.LBB25_179:
	s_or_b64 exec, exec, s[0:1]
	s_waitcnt vmcnt(6)
	v_xor_b32_e32 v32, 0x80000000, v32
	v_lshrrev_b32_e32 v8, s68, v32
	v_and_b32_e32 v36, s14, v8
	v_mul_lo_u32 v8, v36, 36
	v_lshl_add_u32 v39, v25, 2, v8
	v_and_b32_e32 v8, 1, v36
	v_lshl_add_u64 v[10:11], v[8:9], 0, -1
	v_cmp_ne_u32_e32 vcc, 0, v8
	; wave barrier
	s_nop 1
	v_xor_b32_e32 v10, vcc_lo, v10
	v_xor_b32_e32 v8, vcc_hi, v11
	v_and_b32_e32 v38, exec_lo, v10
	v_lshlrev_b32_e32 v11, 30, v36
	v_mov_b32_e32 v10, v9
	v_cmp_gt_i64_e32 vcc, 0, v[10:11]
	v_not_b32_e32 v10, v11
	v_ashrrev_i32_e32 v10, 31, v10
	v_and_b32_e32 v8, exec_hi, v8
	v_xor_b32_e32 v11, vcc_hi, v10
	v_xor_b32_e32 v10, vcc_lo, v10
	v_and_b32_e32 v8, v8, v11
	v_and_b32_e32 v38, v38, v10
	v_lshlrev_b32_e32 v11, 29, v36
	v_mov_b32_e32 v10, v9
	v_cmp_gt_i64_e32 vcc, 0, v[10:11]
	v_not_b32_e32 v10, v11
	v_ashrrev_i32_e32 v10, 31, v10
	v_xor_b32_e32 v11, vcc_hi, v10
	v_xor_b32_e32 v10, vcc_lo, v10
	v_and_b32_e32 v8, v8, v11
	v_and_b32_e32 v38, v38, v10
	v_lshlrev_b32_e32 v11, 28, v36
	v_mov_b32_e32 v10, v9
	v_cmp_gt_i64_e32 vcc, 0, v[10:11]
	v_not_b32_e32 v10, v11
	v_ashrrev_i32_e32 v10, 31, v10
	v_xor_b32_e32 v11, vcc_hi, v10
	v_xor_b32_e32 v10, vcc_lo, v10
	v_and_b32_e32 v8, v8, v11
	v_lshlrev_b32_e32 v11, 27, v36
	v_and_b32_e32 v38, v38, v10
	v_mov_b32_e32 v10, v9
	v_not_b32_e32 v9, v11
	v_cmp_gt_i64_e32 vcc, 0, v[10:11]
	v_ashrrev_i32_e32 v9, 31, v9
	ds_read_b32 v34, v39 offset:32
	v_xor_b32_e32 v10, vcc_hi, v9
	v_xor_b32_e32 v11, vcc_lo, v9
	v_and_b32_e32 v9, v8, v10
	v_and_b32_e32 v8, v38, v11
	v_mbcnt_lo_u32_b32 v10, v8, 0
	v_mbcnt_hi_u32_b32 v36, v9, v10
	v_cmp_eq_u32_e32 vcc, 0, v36
	v_cmp_ne_u64_e64 s[0:1], 0, v[8:9]
	s_and_b64 s[4:5], s[0:1], vcc
	; wave barrier
	s_and_saveexec_b64 s[0:1], s[4:5]
	s_cbranch_execz .LBB25_181
; %bb.180:
	v_bcnt_u32_b32 v8, v8, 0
	v_bcnt_u32_b32 v8, v9, v8
	s_waitcnt lgkmcnt(0)
	v_add_u32_e32 v8, v34, v8
	ds_write_b32 v39, v8 offset:32
.LBB25_181:
	s_or_b64 exec, exec, s[0:1]
	s_waitcnt vmcnt(5)
	v_xor_b32_e32 v37, 0x80000000, v37
	v_lshrrev_b32_e32 v8, s68, v37
	v_and_b32_e32 v41, s14, v8
	v_mul_lo_u32 v8, v41, 36
	v_lshl_add_u32 v43, v25, 2, v8
	v_and_b32_e32 v8, 1, v41
	v_mov_b32_e32 v9, 0
	v_lshl_add_u64 v[10:11], v[8:9], 0, -1
	v_cmp_ne_u32_e32 vcc, 0, v8
	; wave barrier
	s_nop 1
	v_xor_b32_e32 v10, vcc_lo, v10
	v_xor_b32_e32 v8, vcc_hi, v11
	v_and_b32_e32 v42, exec_lo, v10
	v_lshlrev_b32_e32 v11, 30, v41
	v_mov_b32_e32 v10, v9
	v_cmp_gt_i64_e32 vcc, 0, v[10:11]
	v_not_b32_e32 v10, v11
	v_ashrrev_i32_e32 v10, 31, v10
	v_and_b32_e32 v8, exec_hi, v8
	v_xor_b32_e32 v11, vcc_hi, v10
	v_xor_b32_e32 v10, vcc_lo, v10
	v_and_b32_e32 v8, v8, v11
	v_and_b32_e32 v42, v42, v10
	v_lshlrev_b32_e32 v11, 29, v41
	v_mov_b32_e32 v10, v9
	v_cmp_gt_i64_e32 vcc, 0, v[10:11]
	v_not_b32_e32 v10, v11
	v_ashrrev_i32_e32 v10, 31, v10
	v_xor_b32_e32 v11, vcc_hi, v10
	v_xor_b32_e32 v10, vcc_lo, v10
	v_and_b32_e32 v8, v8, v11
	v_and_b32_e32 v42, v42, v10
	v_lshlrev_b32_e32 v11, 28, v41
	v_mov_b32_e32 v10, v9
	v_cmp_gt_i64_e32 vcc, 0, v[10:11]
	v_not_b32_e32 v10, v11
	v_ashrrev_i32_e32 v10, 31, v10
	;; [unrolled: 9-line block ×3, first 2 shown]
	v_xor_b32_e32 v11, vcc_hi, v10
	v_xor_b32_e32 v10, vcc_lo, v10
	ds_read_b32 v38, v43 offset:32
	v_and_b32_e32 v10, v42, v10
	v_and_b32_e32 v11, v8, v11
	v_mbcnt_lo_u32_b32 v8, v10, 0
	v_mbcnt_hi_u32_b32 v41, v11, v8
	v_cmp_eq_u32_e32 vcc, 0, v41
	v_cmp_ne_u64_e64 s[0:1], 0, v[10:11]
	s_and_b64 s[4:5], s[0:1], vcc
	; wave barrier
	s_and_saveexec_b64 s[0:1], s[4:5]
	s_cbranch_execz .LBB25_183
; %bb.182:
	v_bcnt_u32_b32 v8, v10, 0
	v_bcnt_u32_b32 v8, v11, v8
	s_waitcnt lgkmcnt(0)
	v_add_u32_e32 v8, v38, v8
	ds_write_b32 v43, v8 offset:32
.LBB25_183:
	s_or_b64 exec, exec, s[0:1]
	s_waitcnt vmcnt(4)
	v_xor_b32_e32 v40, 0x80000000, v40
	v_lshrrev_b32_e32 v8, s68, v40
	v_and_b32_e32 v44, s14, v8
	v_mul_lo_u32 v8, v44, 36
	v_lshl_add_u32 v46, v25, 2, v8
	v_and_b32_e32 v8, 1, v44
	v_lshl_add_u64 v[10:11], v[8:9], 0, -1
	v_cmp_ne_u32_e32 vcc, 0, v8
	; wave barrier
	s_nop 1
	v_xor_b32_e32 v10, vcc_lo, v10
	v_xor_b32_e32 v8, vcc_hi, v11
	v_and_b32_e32 v45, exec_lo, v10
	v_lshlrev_b32_e32 v11, 30, v44
	v_mov_b32_e32 v10, v9
	v_cmp_gt_i64_e32 vcc, 0, v[10:11]
	v_not_b32_e32 v10, v11
	v_ashrrev_i32_e32 v10, 31, v10
	v_and_b32_e32 v8, exec_hi, v8
	v_xor_b32_e32 v11, vcc_hi, v10
	v_xor_b32_e32 v10, vcc_lo, v10
	v_and_b32_e32 v8, v8, v11
	v_and_b32_e32 v45, v45, v10
	v_lshlrev_b32_e32 v11, 29, v44
	v_mov_b32_e32 v10, v9
	v_cmp_gt_i64_e32 vcc, 0, v[10:11]
	v_not_b32_e32 v10, v11
	v_ashrrev_i32_e32 v10, 31, v10
	v_xor_b32_e32 v11, vcc_hi, v10
	v_xor_b32_e32 v10, vcc_lo, v10
	v_and_b32_e32 v8, v8, v11
	v_and_b32_e32 v45, v45, v10
	v_lshlrev_b32_e32 v11, 28, v44
	v_mov_b32_e32 v10, v9
	v_cmp_gt_i64_e32 vcc, 0, v[10:11]
	v_not_b32_e32 v10, v11
	v_ashrrev_i32_e32 v10, 31, v10
	v_xor_b32_e32 v11, vcc_hi, v10
	v_xor_b32_e32 v10, vcc_lo, v10
	v_and_b32_e32 v8, v8, v11
	v_lshlrev_b32_e32 v11, 27, v44
	v_and_b32_e32 v45, v45, v10
	v_mov_b32_e32 v10, v9
	v_not_b32_e32 v9, v11
	v_cmp_gt_i64_e32 vcc, 0, v[10:11]
	v_ashrrev_i32_e32 v9, 31, v9
	ds_read_b32 v42, v46 offset:32
	v_xor_b32_e32 v10, vcc_hi, v9
	v_xor_b32_e32 v11, vcc_lo, v9
	v_and_b32_e32 v9, v8, v10
	v_and_b32_e32 v8, v45, v11
	v_mbcnt_lo_u32_b32 v10, v8, 0
	v_mbcnt_hi_u32_b32 v44, v9, v10
	v_cmp_eq_u32_e32 vcc, 0, v44
	v_cmp_ne_u64_e64 s[0:1], 0, v[8:9]
	s_and_b64 s[4:5], s[0:1], vcc
	; wave barrier
	s_and_saveexec_b64 s[0:1], s[4:5]
	s_cbranch_execz .LBB25_185
; %bb.184:
	v_bcnt_u32_b32 v8, v8, 0
	v_bcnt_u32_b32 v8, v9, v8
	s_waitcnt lgkmcnt(0)
	v_add_u32_e32 v8, v42, v8
	ds_write_b32 v46, v8 offset:32
.LBB25_185:
	s_or_b64 exec, exec, s[0:1]
	s_waitcnt vmcnt(3)
	v_xor_b32_e32 v35, 0x80000000, v35
	v_lshrrev_b32_e32 v8, s68, v35
	v_and_b32_e32 v47, s14, v8
	v_mul_lo_u32 v8, v47, 36
	v_lshl_add_u32 v49, v25, 2, v8
	v_and_b32_e32 v8, 1, v47
	v_mov_b32_e32 v9, 0
	v_lshl_add_u64 v[10:11], v[8:9], 0, -1
	v_cmp_ne_u32_e32 vcc, 0, v8
	; wave barrier
	s_nop 1
	v_xor_b32_e32 v10, vcc_lo, v10
	v_xor_b32_e32 v8, vcc_hi, v11
	v_and_b32_e32 v48, exec_lo, v10
	v_lshlrev_b32_e32 v11, 30, v47
	v_mov_b32_e32 v10, v9
	v_cmp_gt_i64_e32 vcc, 0, v[10:11]
	v_not_b32_e32 v10, v11
	v_ashrrev_i32_e32 v10, 31, v10
	v_and_b32_e32 v8, exec_hi, v8
	v_xor_b32_e32 v11, vcc_hi, v10
	v_xor_b32_e32 v10, vcc_lo, v10
	v_and_b32_e32 v8, v8, v11
	v_and_b32_e32 v48, v48, v10
	v_lshlrev_b32_e32 v11, 29, v47
	v_mov_b32_e32 v10, v9
	v_cmp_gt_i64_e32 vcc, 0, v[10:11]
	v_not_b32_e32 v10, v11
	v_ashrrev_i32_e32 v10, 31, v10
	v_xor_b32_e32 v11, vcc_hi, v10
	v_xor_b32_e32 v10, vcc_lo, v10
	v_and_b32_e32 v8, v8, v11
	v_and_b32_e32 v48, v48, v10
	v_lshlrev_b32_e32 v11, 28, v47
	v_mov_b32_e32 v10, v9
	v_cmp_gt_i64_e32 vcc, 0, v[10:11]
	v_not_b32_e32 v10, v11
	v_ashrrev_i32_e32 v10, 31, v10
	;; [unrolled: 9-line block ×3, first 2 shown]
	v_xor_b32_e32 v11, vcc_hi, v10
	v_xor_b32_e32 v10, vcc_lo, v10
	ds_read_b32 v45, v49 offset:32
	v_and_b32_e32 v10, v48, v10
	v_and_b32_e32 v11, v8, v11
	v_mbcnt_lo_u32_b32 v8, v10, 0
	v_mbcnt_hi_u32_b32 v47, v11, v8
	v_cmp_eq_u32_e32 vcc, 0, v47
	v_cmp_ne_u64_e64 s[0:1], 0, v[10:11]
	s_and_b64 s[4:5], s[0:1], vcc
	; wave barrier
	s_and_saveexec_b64 s[0:1], s[4:5]
	s_cbranch_execz .LBB25_187
; %bb.186:
	v_bcnt_u32_b32 v8, v10, 0
	v_bcnt_u32_b32 v8, v11, v8
	s_waitcnt lgkmcnt(0)
	v_add_u32_e32 v8, v45, v8
	ds_write_b32 v49, v8 offset:32
.LBB25_187:
	s_or_b64 exec, exec, s[0:1]
	s_waitcnt vmcnt(2)
	v_xor_b32_e32 v30, 0x80000000, v30
	v_lshrrev_b32_e32 v8, s68, v30
	v_and_b32_e32 v50, s14, v8
	v_mul_lo_u32 v8, v50, 36
	v_lshl_add_u32 v53, v25, 2, v8
	v_and_b32_e32 v8, 1, v50
	v_lshl_add_u64 v[10:11], v[8:9], 0, -1
	v_cmp_ne_u32_e32 vcc, 0, v8
	; wave barrier
	s_nop 1
	v_xor_b32_e32 v10, vcc_lo, v10
	v_xor_b32_e32 v8, vcc_hi, v11
	v_and_b32_e32 v51, exec_lo, v10
	v_lshlrev_b32_e32 v11, 30, v50
	v_mov_b32_e32 v10, v9
	v_cmp_gt_i64_e32 vcc, 0, v[10:11]
	v_not_b32_e32 v10, v11
	v_ashrrev_i32_e32 v10, 31, v10
	v_and_b32_e32 v8, exec_hi, v8
	v_xor_b32_e32 v11, vcc_hi, v10
	v_xor_b32_e32 v10, vcc_lo, v10
	v_and_b32_e32 v8, v8, v11
	v_and_b32_e32 v51, v51, v10
	v_lshlrev_b32_e32 v11, 29, v50
	v_mov_b32_e32 v10, v9
	v_cmp_gt_i64_e32 vcc, 0, v[10:11]
	v_not_b32_e32 v10, v11
	v_ashrrev_i32_e32 v10, 31, v10
	v_xor_b32_e32 v11, vcc_hi, v10
	v_xor_b32_e32 v10, vcc_lo, v10
	v_and_b32_e32 v8, v8, v11
	v_and_b32_e32 v51, v51, v10
	v_lshlrev_b32_e32 v11, 28, v50
	v_mov_b32_e32 v10, v9
	v_cmp_gt_i64_e32 vcc, 0, v[10:11]
	v_not_b32_e32 v10, v11
	v_ashrrev_i32_e32 v10, 31, v10
	v_xor_b32_e32 v11, vcc_hi, v10
	v_xor_b32_e32 v10, vcc_lo, v10
	v_and_b32_e32 v8, v8, v11
	v_lshlrev_b32_e32 v11, 27, v50
	v_and_b32_e32 v51, v51, v10
	v_mov_b32_e32 v10, v9
	v_not_b32_e32 v9, v11
	v_cmp_gt_i64_e32 vcc, 0, v[10:11]
	v_ashrrev_i32_e32 v9, 31, v9
	ds_read_b32 v48, v53 offset:32
	v_xor_b32_e32 v10, vcc_hi, v9
	v_xor_b32_e32 v11, vcc_lo, v9
	v_and_b32_e32 v9, v8, v10
	v_and_b32_e32 v8, v51, v11
	v_mbcnt_lo_u32_b32 v10, v8, 0
	v_mbcnt_hi_u32_b32 v50, v9, v10
	v_cmp_eq_u32_e32 vcc, 0, v50
	v_cmp_ne_u64_e64 s[0:1], 0, v[8:9]
	s_and_b64 s[4:5], s[0:1], vcc
	; wave barrier
	s_and_saveexec_b64 s[0:1], s[4:5]
	s_cbranch_execz .LBB25_189
; %bb.188:
	v_bcnt_u32_b32 v8, v8, 0
	v_bcnt_u32_b32 v8, v9, v8
	s_waitcnt lgkmcnt(0)
	v_add_u32_e32 v8, v48, v8
	ds_write_b32 v53, v8 offset:32
.LBB25_189:
	s_or_b64 exec, exec, s[0:1]
	s_waitcnt vmcnt(1)
	v_xor_b32_e32 v51, 0x80000000, v24
	v_lshrrev_b32_e32 v8, s68, v51
	v_and_b32_e32 v54, s14, v8
	v_mul_lo_u32 v8, v54, 36
	v_lshl_add_u32 v24, v25, 2, v8
	v_and_b32_e32 v8, 1, v54
	v_mov_b32_e32 v9, 0
	v_lshl_add_u64 v[10:11], v[8:9], 0, -1
	v_cmp_ne_u32_e32 vcc, 0, v8
	; wave barrier
	s_nop 1
	v_xor_b32_e32 v10, vcc_lo, v10
	v_xor_b32_e32 v8, vcc_hi, v11
	v_and_b32_e32 v55, exec_lo, v10
	v_lshlrev_b32_e32 v11, 30, v54
	v_mov_b32_e32 v10, v9
	v_cmp_gt_i64_e32 vcc, 0, v[10:11]
	v_not_b32_e32 v10, v11
	v_ashrrev_i32_e32 v10, 31, v10
	v_and_b32_e32 v8, exec_hi, v8
	v_xor_b32_e32 v11, vcc_hi, v10
	v_xor_b32_e32 v10, vcc_lo, v10
	v_and_b32_e32 v8, v8, v11
	v_and_b32_e32 v55, v55, v10
	v_lshlrev_b32_e32 v11, 29, v54
	v_mov_b32_e32 v10, v9
	v_cmp_gt_i64_e32 vcc, 0, v[10:11]
	v_not_b32_e32 v10, v11
	v_ashrrev_i32_e32 v10, 31, v10
	v_xor_b32_e32 v11, vcc_hi, v10
	v_xor_b32_e32 v10, vcc_lo, v10
	v_and_b32_e32 v8, v8, v11
	v_and_b32_e32 v55, v55, v10
	v_lshlrev_b32_e32 v11, 28, v54
	v_mov_b32_e32 v10, v9
	v_cmp_gt_i64_e32 vcc, 0, v[10:11]
	v_not_b32_e32 v10, v11
	v_ashrrev_i32_e32 v10, 31, v10
	;; [unrolled: 9-line block ×3, first 2 shown]
	v_xor_b32_e32 v11, vcc_hi, v10
	v_xor_b32_e32 v10, vcc_lo, v10
	ds_read_b32 v52, v24 offset:32
	v_and_b32_e32 v10, v55, v10
	v_and_b32_e32 v11, v8, v11
	v_mbcnt_lo_u32_b32 v8, v10, 0
	v_mbcnt_hi_u32_b32 v54, v11, v8
	v_cmp_eq_u32_e32 vcc, 0, v54
	v_cmp_ne_u64_e64 s[0:1], 0, v[10:11]
	s_and_b64 s[4:5], s[0:1], vcc
	; wave barrier
	s_and_saveexec_b64 s[0:1], s[4:5]
	s_cbranch_execz .LBB25_191
; %bb.190:
	v_bcnt_u32_b32 v8, v10, 0
	v_bcnt_u32_b32 v8, v11, v8
	s_waitcnt lgkmcnt(0)
	v_add_u32_e32 v8, v52, v8
	ds_write_b32 v24, v8 offset:32
.LBB25_191:
	s_or_b64 exec, exec, s[0:1]
	s_waitcnt vmcnt(0)
	v_xor_b32_e32 v55, 0x80000000, v19
	v_lshrrev_b32_e32 v8, s68, v55
	v_and_b32_e32 v11, s14, v8
	v_mul_lo_u32 v8, v11, 36
	v_lshl_add_u32 v10, v25, 2, v8
	v_and_b32_e32 v8, 1, v11
	v_lshl_add_u64 v[58:59], v[8:9], 0, -1
	v_cmp_ne_u32_e32 vcc, 0, v8
	; wave barrier
	s_nop 1
	v_xor_b32_e32 v8, vcc_hi, v59
	v_lshlrev_b32_e32 v59, 30, v11
	v_xor_b32_e32 v19, vcc_lo, v58
	v_mov_b32_e32 v58, v9
	v_not_b32_e32 v25, v59
	v_cmp_gt_i64_e32 vcc, 0, v[58:59]
	v_ashrrev_i32_e32 v25, 31, v25
	v_and_b32_e32 v19, exec_lo, v19
	v_xor_b32_e32 v57, vcc_hi, v25
	v_xor_b32_e32 v25, vcc_lo, v25
	v_lshlrev_b32_e32 v59, 29, v11
	v_and_b32_e32 v19, v19, v25
	v_not_b32_e32 v25, v59
	v_and_b32_e32 v8, exec_hi, v8
	v_cmp_gt_i64_e32 vcc, 0, v[58:59]
	v_ashrrev_i32_e32 v25, 31, v25
	v_and_b32_e32 v8, v8, v57
	v_xor_b32_e32 v57, vcc_hi, v25
	v_xor_b32_e32 v25, vcc_lo, v25
	v_lshlrev_b32_e32 v59, 28, v11
	v_and_b32_e32 v19, v19, v25
	v_cmp_gt_i64_e32 vcc, 0, v[58:59]
	v_not_b32_e32 v25, v59
	v_lshlrev_b32_e32 v59, 27, v11
	v_ashrrev_i32_e32 v25, 31, v25
	v_not_b32_e32 v9, v59
	v_and_b32_e32 v8, v8, v57
	v_xor_b32_e32 v57, vcc_hi, v25
	v_xor_b32_e32 v25, vcc_lo, v25
	v_cmp_gt_i64_e32 vcc, 0, v[58:59]
	v_ashrrev_i32_e32 v9, 31, v9
	v_and_b32_e32 v8, v8, v57
	v_and_b32_e32 v19, v19, v25
	v_xor_b32_e32 v11, vcc_hi, v9
	v_xor_b32_e32 v25, vcc_lo, v9
	ds_read_b32 v56, v10 offset:32
	v_and_b32_e32 v9, v8, v11
	v_and_b32_e32 v8, v19, v25
	v_mbcnt_lo_u32_b32 v11, v8, 0
	v_mbcnt_hi_u32_b32 v57, v9, v11
	v_cmp_eq_u32_e32 vcc, 0, v57
	v_cmp_ne_u64_e64 s[0:1], 0, v[8:9]
	s_and_b64 s[4:5], s[0:1], vcc
	; wave barrier
	s_and_saveexec_b64 s[0:1], s[4:5]
	s_cbranch_execz .LBB25_193
; %bb.192:
	v_bcnt_u32_b32 v8, v8, 0
	v_bcnt_u32_b32 v8, v9, v8
	s_waitcnt lgkmcnt(0)
	v_add_u32_e32 v8, v56, v8
	ds_write_b32 v10, v8 offset:32
.LBB25_193:
	s_or_b64 exec, exec, s[0:1]
	; wave barrier
	s_waitcnt lgkmcnt(0)
	s_barrier
	ds_read_b32 v8, v0 offset:32
	v_and_b32_e32 v9, 15, v1
	v_cmp_ne_u32_e32 vcc, 0, v9
	v_min_u32_e32 v7, 0x1c0, v7
	v_or_b32_e32 v7, 63, v7
	s_waitcnt lgkmcnt(0)
	v_mov_b32_dpp v11, v8 row_shr:1 row_mask:0xf bank_mask:0xf
	v_cndmask_b32_e32 v11, 0, v11, vcc
	v_add_u32_e32 v8, v11, v8
	v_cmp_lt_u32_e32 vcc, 1, v9
	s_nop 0
	v_mov_b32_dpp v11, v8 row_shr:2 row_mask:0xf bank_mask:0xf
	v_cndmask_b32_e32 v11, 0, v11, vcc
	v_add_u32_e32 v8, v8, v11
	v_cmp_lt_u32_e32 vcc, 3, v9
	s_nop 0
	;; [unrolled: 5-line block ×3, first 2 shown]
	v_mov_b32_dpp v11, v8 row_shr:8 row_mask:0xf bank_mask:0xf
	v_cndmask_b32_e32 v9, 0, v11, vcc
	v_add_u32_e32 v8, v8, v9
	v_bfe_i32 v11, v1, 4, 1
	v_cmp_lt_u32_e32 vcc, 31, v1
	v_mov_b32_dpp v9, v8 row_bcast:15 row_mask:0xf bank_mask:0xf
	v_and_b32_e32 v9, v11, v9
	v_add_u32_e32 v8, v8, v9
	s_nop 1
	v_mov_b32_dpp v9, v8 row_bcast:31 row_mask:0xf bank_mask:0xf
	v_cndmask_b32_e32 v9, 0, v9, vcc
	v_add_u32_e32 v8, v8, v9
	v_lshrrev_b32_e32 v9, 6, v6
	v_cmp_eq_u32_e32 vcc, v6, v7
	s_and_saveexec_b64 s[0:1], vcc
; %bb.194:
	v_lshlrev_b32_e32 v7, 2, v9
	ds_write_b32 v7, v8
; %bb.195:
	s_or_b64 exec, exec, s[0:1]
	v_cmp_gt_u32_e32 vcc, 8, v6
	s_waitcnt lgkmcnt(0)
	s_barrier
	s_and_saveexec_b64 s[0:1], vcc
	s_cbranch_execz .LBB25_197
; %bb.196:
	ds_read_b32 v7, v0
	v_and_b32_e32 v11, 7, v1
	v_cmp_ne_u32_e32 vcc, 0, v11
	s_waitcnt lgkmcnt(0)
	v_mov_b32_dpp v19, v7 row_shr:1 row_mask:0xf bank_mask:0xf
	v_cndmask_b32_e32 v19, 0, v19, vcc
	v_add_u32_e32 v7, v19, v7
	v_cmp_lt_u32_e32 vcc, 1, v11
	s_nop 0
	v_mov_b32_dpp v19, v7 row_shr:2 row_mask:0xf bank_mask:0xf
	v_cndmask_b32_e32 v19, 0, v19, vcc
	v_add_u32_e32 v7, v7, v19
	v_cmp_lt_u32_e32 vcc, 3, v11
	s_nop 0
	v_mov_b32_dpp v19, v7 row_shr:4 row_mask:0xf bank_mask:0xf
	v_cndmask_b32_e32 v11, 0, v19, vcc
	v_add_u32_e32 v7, v7, v11
	ds_write_b32 v0, v7
.LBB25_197:
	s_or_b64 exec, exec, s[0:1]
	v_cmp_lt_u32_e32 vcc, 63, v6
	v_mov_b32_e32 v7, 0
	s_waitcnt lgkmcnt(0)
	s_barrier
	s_and_saveexec_b64 s[0:1], vcc
; %bb.198:
	v_lshl_add_u32 v7, v9, 2, -4
	ds_read_b32 v7, v7
; %bb.199:
	s_or_b64 exec, exec, s[0:1]
	v_add_u32_e32 v9, -1, v1
	v_and_b32_e32 v11, 64, v1
	v_cmp_lt_i32_e32 vcc, v9, v11
	s_waitcnt lgkmcnt(0)
	v_add_u32_e32 v8, v7, v8
	v_cmp_gt_u32_e64 s[0:1], 32, v6
	v_cndmask_b32_e32 v9, v9, v1, vcc
	v_lshlrev_b32_e32 v9, 2, v9
	ds_bpermute_b32 v8, v9, v8
	v_cmp_eq_u32_e32 vcc, 0, v1
	s_waitcnt lgkmcnt(0)
	s_nop 0
	v_cndmask_b32_e32 v1, v8, v7, vcc
	ds_write_b32 v0, v1 offset:32
	s_waitcnt lgkmcnt(0)
	s_barrier
	ds_read_b32 v11, v14 offset:32
	ds_read_b32 v19, v16 offset:32
	;; [unrolled: 1-line block ×12, first 2 shown]
	v_cmp_lt_u32_e32 vcc, 31, v6
	v_mov_b64_e32 v[8:9], 0
                                        ; implicit-def: $vgpr10
	s_and_saveexec_b64 s[6:7], s[0:1]
	s_cbranch_execz .LBB25_203
; %bb.200:
	v_mul_u32_u24_e32 v8, 36, v6
	ds_read_b32 v8, v8 offset:32
	v_add_u32_e32 v10, 1, v6
	v_cmp_ne_u32_e64 s[4:5], 32, v10
	v_mov_b32_e32 v9, 0x1800
	s_and_saveexec_b64 s[8:9], s[4:5]
; %bb.201:
	v_mul_u32_u24_e32 v9, 36, v10
	ds_read_b32 v9, v9 offset:32
; %bb.202:
	s_or_b64 exec, exec, s[8:9]
	s_waitcnt lgkmcnt(0)
	v_sub_u32_e32 v10, v9, v8
	v_mov_b32_e32 v9, 0
.LBB25_203:
	s_or_b64 exec, exec, s[6:7]
	v_lshlrev_b32_e32 v5, 2, v5
	s_waitcnt lgkmcnt(11)
	v_lshl_add_u32 v11, v11, 2, v5
	s_waitcnt lgkmcnt(0)
	s_barrier
	ds_write_b32 v11, v3 offset:256
	v_lshlrev_b32_e32 v3, 2, v19
	v_lshlrev_b32_e32 v5, 2, v15
	;; [unrolled: 1-line block ×3, first 2 shown]
	v_add3_u32 v19, v3, v5, v13
	ds_write_b32 v19, v12 offset:256
	v_lshlrev_b32_e32 v3, 2, v59
	v_lshlrev_b32_e32 v5, 2, v20
	;; [unrolled: 1-line block ×3, first 2 shown]
	v_add3_u32 v18, v3, v5, v12
	v_lshlrev_b32_e32 v3, 2, v58
	v_lshlrev_b32_e32 v5, 2, v26
	;; [unrolled: 1-line block ×3, first 2 shown]
	v_add3_u32 v20, v3, v5, v12
	v_lshlrev_b32_e32 v3, 2, v33
	v_lshlrev_b32_e32 v5, 2, v31
	;; [unrolled: 1-line block ×3, first 2 shown]
	ds_write_b32 v18, v17 offset:256
	ds_write_b32 v20, v21 offset:256
	v_add3_u32 v21, v3, v5, v12
	v_lshlrev_b32_e32 v3, 2, v22
	v_lshlrev_b32_e32 v5, 2, v36
	v_lshlrev_b32_e32 v12, 2, v34
	v_add3_u32 v22, v3, v5, v12
	v_lshlrev_b32_e32 v3, 2, v28
	v_lshlrev_b32_e32 v5, 2, v41
	v_lshlrev_b32_e32 v12, 2, v38
	;; [unrolled: 4-line block ×6, first 2 shown]
	ds_write_b32 v21, v27 offset:256
	v_add3_u32 v27, v3, v5, v7
	v_lshlrev_b32_e32 v1, 2, v1
	v_lshlrev_b32_e32 v3, 2, v57
	v_lshlrev_b32_e32 v5, 2, v56
	v_add3_u32 v28, v1, v3, v5
	v_lshlrev_b32_e32 v7, 3, v6
	ds_write_b32 v22, v32 offset:256
	ds_write_b32 v23, v37 offset:256
	;; [unrolled: 1-line block ×7, first 2 shown]
	s_waitcnt lgkmcnt(0)
	s_barrier
	s_and_saveexec_b64 s[4:5], s[0:1]
	s_cbranch_execz .LBB25_213
; %bb.204:
	v_lshl_add_u32 v14, s2, 5, v6
	v_mov_b32_e32 v15, 0
	v_lshl_add_u64 v[12:13], v[14:15], 2, s[54:55]
	v_or_b32_e32 v1, 2.0, v10
	global_store_dword v[12:13], v1, off sc1
	s_mov_b64 s[6:7], 0
	s_brev_b32 s15, -4
	s_mov_b32 s16, s2
	v_mov_b32_e32 v1, 0
                                        ; implicit-def: $sgpr0_sgpr1
	s_branch .LBB25_207
.LBB25_205:                             ;   in Loop: Header=BB25_207 Depth=1
	s_or_b64 exec, exec, s[12:13]
.LBB25_206:                             ;   in Loop: Header=BB25_207 Depth=1
	s_or_b64 exec, exec, s[8:9]
	v_and_b32_e32 v5, 0x3fffffff, v3
	v_add_u32_e32 v1, v5, v1
	v_cmp_gt_i32_e64 s[0:1], -2.0, v3
	s_and_b64 s[8:9], exec, s[0:1]
	s_or_b64 s[6:7], s[8:9], s[6:7]
	s_andn2_b64 exec, exec, s[6:7]
	s_cbranch_execz .LBB25_212
.LBB25_207:                             ; =>This Loop Header: Depth=1
                                        ;     Child Loop BB25_210 Depth 2
	s_or_b64 s[0:1], s[0:1], exec
	s_cmp_eq_u32 s16, 0
	s_cbranch_scc1 .LBB25_211
; %bb.208:                              ;   in Loop: Header=BB25_207 Depth=1
	s_add_i32 s16, s16, -1
	v_lshl_or_b32 v14, s16, 5, v6
	v_lshl_add_u64 v[16:17], v[14:15], 2, s[54:55]
	global_load_dword v3, v[16:17], off sc1
	s_waitcnt vmcnt(0)
	v_cmp_gt_u32_e64 s[0:1], 2.0, v3
	s_and_saveexec_b64 s[8:9], s[0:1]
	s_cbranch_execz .LBB25_206
; %bb.209:                              ;   in Loop: Header=BB25_207 Depth=1
	s_mov_b64 s[12:13], 0
.LBB25_210:                             ;   Parent Loop BB25_207 Depth=1
                                        ; =>  This Inner Loop Header: Depth=2
	global_load_dword v3, v[16:17], off sc1
	s_waitcnt vmcnt(0)
	v_cmp_lt_u32_e64 s[0:1], s15, v3
	s_or_b64 s[12:13], s[0:1], s[12:13]
	s_andn2_b64 exec, exec, s[12:13]
	s_cbranch_execnz .LBB25_210
	s_branch .LBB25_205
.LBB25_211:                             ;   in Loop: Header=BB25_207 Depth=1
                                        ; implicit-def: $sgpr16
	s_and_b64 s[8:9], exec, s[0:1]
	s_or_b64 s[6:7], s[8:9], s[6:7]
	s_andn2_b64 exec, exec, s[6:7]
	s_cbranch_execnz .LBB25_207
.LBB25_212:
	s_or_b64 exec, exec, s[6:7]
	v_add_u32_e32 v3, v1, v10
	v_or_b32_e32 v3, 0x80000000, v3
	global_store_dword v[12:13], v3, off sc1
	global_load_dwordx2 v[12:13], v7, s[64:65]
	v_sub_co_u32_e64 v14, s[0:1], v1, v8
	s_nop 1
	v_subb_co_u32_e64 v15, s[0:1], 0, v9, s[0:1]
	s_waitcnt vmcnt(0)
	v_lshl_add_u64 v[12:13], v[14:15], 0, v[12:13]
	ds_write_b64 v7, v[12:13]
.LBB25_213:
	s_or_b64 exec, exec, s[4:5]
	v_sub_u32_e32 v6, v7, v0
	s_waitcnt lgkmcnt(0)
	s_barrier
	ds_read2st64_b32 v[12:13], v6 offset0:1 offset1:9
	v_or_b32_e32 v40, 0x2000, v0
	v_or_b32_e32 v48, 0x4000, v0
	s_add_u32 s0, s60, s10
	s_addc_u32 s1, s61, s11
	s_waitcnt lgkmcnt(0)
	v_lshrrev_b32_e32 v1, s68, v12
	v_and_b32_e32 v1, s14, v1
	v_lshlrev_b32_e32 v29, 3, v1
	ds_read2st64_b32 v[14:15], v6 offset0:17 offset1:25
	ds_read_b64 v[16:17], v29
	v_lshrrev_b32_e32 v1, s68, v13
	v_and_b32_e32 v1, s14, v1
	v_lshlrev_b32_e32 v50, 3, v1
	s_waitcnt lgkmcnt(1)
	v_lshrrev_b32_e32 v1, s68, v14
	v_and_b32_e32 v1, s14, v1
	v_lshlrev_b32_e32 v51, 3, v1
	v_lshrrev_b32_e32 v1, s68, v15
	v_and_b32_e32 v1, s14, v1
	v_lshlrev_b32_e32 v52, 3, v1
	ds_read_b64 v[30:31], v50
	ds_read_b64 v[32:33], v51
	;; [unrolled: 1-line block ×3, first 2 shown]
	s_waitcnt lgkmcnt(3)
	v_lshl_add_u64 v[16:17], v[16:17], 2, s[58:59]
	v_mov_b32_e32 v1, 0
	v_xor_b32_e32 v3, 0x80000000, v12
	v_lshl_add_u64 v[16:17], v[16:17], 0, v[0:1]
	global_store_dword v[16:17], v3, off
	v_xor_b32_e32 v3, 0x80000000, v13
	s_waitcnt lgkmcnt(2)
	v_lshl_add_u64 v[12:13], v[30:31], 2, s[58:59]
	v_lshl_add_u64 v[12:13], v[12:13], 0, v[0:1]
	global_store_dword v[12:13], v3, off offset:2048
	s_waitcnt lgkmcnt(1)
	v_lshl_add_u64 v[12:13], v[32:33], 2, s[58:59]
	v_or_b32_e32 v16, 0x1000, v0
	v_mov_b32_e32 v17, v1
	v_xor_b32_e32 v3, 0x80000000, v14
	v_lshl_add_u64 v[12:13], v[12:13], 0, v[16:17]
	global_store_dword v[12:13], v3, off
	v_xor_b32_e32 v3, 0x80000000, v15
	ds_read2st64_b32 v[14:15], v6 offset0:33 offset1:41
	s_waitcnt lgkmcnt(1)
	v_lshl_add_u64 v[12:13], v[34:35], 2, s[58:59]
	v_add_u32_e32 v30, 0x1800, v0
	v_mov_b32_e32 v31, v1
	v_lshl_add_u64 v[12:13], v[12:13], 0, v[30:31]
	global_store_dword v[12:13], v3, off
	s_waitcnt lgkmcnt(0)
	v_lshrrev_b32_e32 v3, s68, v14
	v_and_b32_e32 v3, s14, v3
	v_lshlrev_b32_e32 v53, 3, v3
	ds_read2st64_b32 v[12:13], v6 offset0:49 offset1:57
	ds_read_b64 v[32:33], v53
	v_lshrrev_b32_e32 v3, s68, v15
	v_and_b32_e32 v3, s14, v3
	v_lshlrev_b32_e32 v54, 3, v3
	s_waitcnt lgkmcnt(1)
	v_lshrrev_b32_e32 v3, s68, v12
	v_and_b32_e32 v3, s14, v3
	v_lshlrev_b32_e32 v55, 3, v3
	v_lshrrev_b32_e32 v3, s68, v13
	v_and_b32_e32 v3, s14, v3
	v_lshlrev_b32_e32 v56, 3, v3
	ds_read_b64 v[34:35], v54
	ds_read_b64 v[36:37], v55
	;; [unrolled: 1-line block ×3, first 2 shown]
	s_waitcnt lgkmcnt(3)
	v_lshl_add_u64 v[32:33], v[32:33], 2, s[58:59]
	v_mov_b32_e32 v41, v1
	v_xor_b32_e32 v5, 0x80000000, v14
	v_lshl_add_u64 v[32:33], v[32:33], 0, v[40:41]
	global_store_dword v[32:33], v5, off
	v_xor_b32_e32 v3, 0x80000000, v15
	s_waitcnt lgkmcnt(2)
	v_lshl_add_u64 v[14:15], v[34:35], 2, s[58:59]
	v_add_u32_e32 v32, 0x2800, v0
	v_mov_b32_e32 v33, v1
	v_lshl_add_u64 v[14:15], v[14:15], 0, v[32:33]
	global_store_dword v[14:15], v3, off
	s_waitcnt lgkmcnt(1)
	v_lshl_add_u64 v[14:15], v[36:37], 2, s[58:59]
	v_or_b32_e32 v34, 0x3000, v0
	v_mov_b32_e32 v35, v1
	v_xor_b32_e32 v3, 0x80000000, v12
	v_lshl_add_u64 v[14:15], v[14:15], 0, v[34:35]
	global_store_dword v[14:15], v3, off
	ds_read2st64_b32 v[14:15], v6 offset0:65 offset1:73
	v_xor_b32_e32 v3, 0x80000000, v13
	s_waitcnt lgkmcnt(1)
	v_lshl_add_u64 v[12:13], v[38:39], 2, s[58:59]
	v_add_u32_e32 v36, 0x3800, v0
	v_mov_b32_e32 v37, v1
	v_lshl_add_u64 v[12:13], v[12:13], 0, v[36:37]
	global_store_dword v[12:13], v3, off
	s_waitcnt lgkmcnt(0)
	v_lshrrev_b32_e32 v3, s68, v14
	v_and_b32_e32 v3, s14, v3
	v_lshlrev_b32_e32 v57, 3, v3
	ds_read2st64_b32 v[12:13], v6 offset0:81 offset1:89
	ds_read_b64 v[38:39], v57
	v_lshrrev_b32_e32 v3, s68, v15
	v_and_b32_e32 v3, s14, v3
	v_lshlrev_b32_e32 v58, 3, v3
	s_waitcnt lgkmcnt(1)
	v_lshrrev_b32_e32 v3, s68, v12
	v_and_b32_e32 v3, s14, v3
	v_lshlrev_b32_e32 v59, 3, v3
	v_lshrrev_b32_e32 v3, s68, v13
	v_and_b32_e32 v3, s14, v3
	v_lshlrev_b32_e32 v60, 3, v3
	ds_read_b64 v[42:43], v58
	ds_read_b64 v[44:45], v59
	;; [unrolled: 1-line block ×3, first 2 shown]
	s_waitcnt lgkmcnt(3)
	v_lshl_add_u64 v[38:39], v[38:39], 2, s[58:59]
	v_mov_b32_e32 v49, v1
	v_xor_b32_e32 v5, 0x80000000, v14
	v_lshl_add_u64 v[38:39], v[38:39], 0, v[48:49]
	global_store_dword v[38:39], v5, off
	v_xor_b32_e32 v3, 0x80000000, v15
	s_waitcnt lgkmcnt(2)
	v_lshl_add_u64 v[14:15], v[42:43], 2, s[58:59]
	v_add_u32_e32 v38, 0x4800, v0
	v_mov_b32_e32 v39, v1
	v_lshl_add_u64 v[14:15], v[14:15], 0, v[38:39]
	global_store_dword v[14:15], v3, off
	s_waitcnt lgkmcnt(1)
	v_lshl_add_u64 v[14:15], v[44:45], 2, s[58:59]
	v_or_b32_e32 v42, 0x5000, v0
	v_mov_b32_e32 v43, v1
	v_lshl_add_u64 v[14:15], v[14:15], 0, v[42:43]
	v_xor_b32_e32 v3, 0x80000000, v12
	global_store_dword v[14:15], v3, off
	v_xor_b32_e32 v3, 0x80000000, v13
	s_waitcnt lgkmcnt(0)
	v_lshl_add_u64 v[12:13], v[46:47], 2, s[58:59]
	v_add_u32_e32 v14, 0x5800, v0
	v_mov_b32_e32 v15, v1
	v_lshl_add_u64 v[12:13], v[12:13], 0, v[14:15]
	global_store_dword v[12:13], v3, off
	v_mov_b32_e32 v3, v1
	v_lshl_add_u64 v[2:3], s[0:1], 0, v[2:3]
	v_mov_b32_e32 v5, v1
	v_lshl_add_u64 v[2:3], v[2:3], 0, v[4:5]
	global_load_dword v4, v[2:3], off
	global_load_dword v5, v[2:3], off offset:256
	global_load_dword v12, v[2:3], off offset:512
	;; [unrolled: 1-line block ×11, first 2 shown]
	s_barrier
	s_add_i32 s3, s3, -1
	s_cmp_eq_u32 s2, s3
	s_cselect_b64 s[0:1], -1, 0
	s_xor_b64 s[2:3], vcc, -1
	s_and_b64 s[0:1], s[2:3], s[0:1]
	s_waitcnt vmcnt(11)
	ds_write_b32 v11, v4 offset:256
	s_waitcnt vmcnt(10)
	ds_write_b32 v19, v5 offset:256
	;; [unrolled: 2-line block ×12, first 2 shown]
	s_waitcnt lgkmcnt(0)
	s_barrier
	ds_read_b64 v[2:3], v29
	ds_read2st64_b32 v[4:5], v6 offset0:1 offset1:9
	ds_read_b64 v[12:13], v50
	ds_read_b64 v[18:19], v51
	;; [unrolled: 1-line block ×3, first 2 shown]
	s_waitcnt lgkmcnt(4)
	v_lshl_add_u64 v[2:3], v[2:3], 2, s[62:63]
	v_lshl_add_u64 v[2:3], v[2:3], 0, v[0:1]
	s_waitcnt lgkmcnt(3)
	global_store_dword v[2:3], v4, off
	s_waitcnt lgkmcnt(2)
	v_lshl_add_u64 v[2:3], v[12:13], 2, s[62:63]
	ds_read2st64_b32 v[12:13], v6 offset0:17 offset1:25
	v_lshl_add_u64 v[2:3], v[2:3], 0, v[0:1]
	global_store_dword v[2:3], v5, off offset:2048
	s_waitcnt lgkmcnt(2)
	v_lshl_add_u64 v[2:3], v[18:19], 2, s[62:63]
	v_lshl_add_u64 v[2:3], v[2:3], 0, v[16:17]
	s_waitcnt lgkmcnt(0)
	global_store_dword v[2:3], v12, off
	v_lshl_add_u64 v[2:3], v[20:21], 2, s[62:63]
	v_lshl_add_u64 v[2:3], v[2:3], 0, v[30:31]
	global_store_dword v[2:3], v13, off
	ds_read_b64 v[2:3], v53
	ds_read2st64_b32 v[4:5], v6 offset0:33 offset1:41
	ds_read_b64 v[12:13], v54
	ds_read_b64 v[16:17], v55
	;; [unrolled: 1-line block ×3, first 2 shown]
	s_waitcnt lgkmcnt(4)
	v_lshl_add_u64 v[2:3], v[2:3], 2, s[62:63]
	v_lshl_add_u64 v[2:3], v[2:3], 0, v[40:41]
	s_waitcnt lgkmcnt(3)
	global_store_dword v[2:3], v4, off
	s_waitcnt lgkmcnt(2)
	v_lshl_add_u64 v[2:3], v[12:13], 2, s[62:63]
	ds_read2st64_b32 v[12:13], v6 offset0:49 offset1:57
	v_lshl_add_u64 v[2:3], v[2:3], 0, v[32:33]
	global_store_dword v[2:3], v5, off
	s_waitcnt lgkmcnt(2)
	v_lshl_add_u64 v[2:3], v[16:17], 2, s[62:63]
	v_lshl_add_u64 v[2:3], v[2:3], 0, v[34:35]
	s_waitcnt lgkmcnt(0)
	global_store_dword v[2:3], v12, off
	v_lshl_add_u64 v[2:3], v[18:19], 2, s[62:63]
	v_lshl_add_u64 v[2:3], v[2:3], 0, v[36:37]
	global_store_dword v[2:3], v13, off
	ds_read_b64 v[2:3], v57
	ds_read2st64_b32 v[4:5], v6 offset0:65 offset1:73
	ds_read_b64 v[12:13], v58
	ds_read_b64 v[16:17], v59
	;; [unrolled: 1-line block ×3, first 2 shown]
	s_waitcnt lgkmcnt(4)
	v_lshl_add_u64 v[2:3], v[2:3], 2, s[62:63]
	v_lshl_add_u64 v[2:3], v[2:3], 0, v[48:49]
	s_waitcnt lgkmcnt(3)
	global_store_dword v[2:3], v4, off
	s_waitcnt lgkmcnt(2)
	v_lshl_add_u64 v[2:3], v[12:13], 2, s[62:63]
	ds_read2st64_b32 v[12:13], v6 offset0:81 offset1:89
	v_lshl_add_u64 v[2:3], v[2:3], 0, v[38:39]
	global_store_dword v[2:3], v5, off
	s_waitcnt lgkmcnt(2)
	v_lshl_add_u64 v[2:3], v[16:17], 2, s[62:63]
	v_lshl_add_u64 v[2:3], v[2:3], 0, v[42:43]
	s_waitcnt lgkmcnt(0)
	global_store_dword v[2:3], v12, off
	v_lshl_add_u64 v[2:3], v[18:19], 2, s[62:63]
	v_lshl_add_u64 v[2:3], v[2:3], 0, v[14:15]
	global_store_dword v[2:3], v13, off
	s_and_saveexec_b64 s[2:3], s[0:1]
	s_cbranch_execz .LBB25_215
; %bb.214:
	ds_read_b64 v[2:3], v7
	v_mov_b32_e32 v11, v1
	v_lshl_add_u64 v[0:1], v[8:9], 0, v[10:11]
	s_waitcnt lgkmcnt(0)
	v_lshl_add_u64 v[0:1], v[0:1], 0, v[2:3]
	global_store_dwordx2 v7, v[0:1], s[66:67]
.LBB25_215:
	s_endpgm
	.section	.rodata,"a",@progbits
	.p2align	6, 0x0
	.amdhsa_kernel _ZN7rocprim17ROCPRIM_304000_NS6detail25onesweep_iteration_kernelINS1_34wrapped_radix_sort_onesweep_configINS0_14default_configEiN2at4cuda3cub6detail10OpaqueTypeILi4EEEEELb0EPiSC_PSA_SD_mNS0_19identity_decomposerEEEvT1_T2_T3_T4_jPT5_SK_PNS1_23onesweep_lookback_stateET6_jjj
		.amdhsa_group_segment_fixed_size 24832
		.amdhsa_private_segment_fixed_size 0
		.amdhsa_kernarg_size 336
		.amdhsa_user_sgpr_count 2
		.amdhsa_user_sgpr_dispatch_ptr 0
		.amdhsa_user_sgpr_queue_ptr 0
		.amdhsa_user_sgpr_kernarg_segment_ptr 1
		.amdhsa_user_sgpr_dispatch_id 0
		.amdhsa_user_sgpr_kernarg_preload_length 0
		.amdhsa_user_sgpr_kernarg_preload_offset 0
		.amdhsa_user_sgpr_private_segment_size 0
		.amdhsa_uses_dynamic_stack 0
		.amdhsa_enable_private_segment 0
		.amdhsa_system_sgpr_workgroup_id_x 1
		.amdhsa_system_sgpr_workgroup_id_y 0
		.amdhsa_system_sgpr_workgroup_id_z 0
		.amdhsa_system_sgpr_workgroup_info 0
		.amdhsa_system_vgpr_workitem_id 2
		.amdhsa_next_free_vgpr 65
		.amdhsa_next_free_sgpr 76
		.amdhsa_accum_offset 68
		.amdhsa_reserve_vcc 1
		.amdhsa_float_round_mode_32 0
		.amdhsa_float_round_mode_16_64 0
		.amdhsa_float_denorm_mode_32 3
		.amdhsa_float_denorm_mode_16_64 3
		.amdhsa_dx10_clamp 1
		.amdhsa_ieee_mode 1
		.amdhsa_fp16_overflow 0
		.amdhsa_tg_split 0
		.amdhsa_exception_fp_ieee_invalid_op 0
		.amdhsa_exception_fp_denorm_src 0
		.amdhsa_exception_fp_ieee_div_zero 0
		.amdhsa_exception_fp_ieee_overflow 0
		.amdhsa_exception_fp_ieee_underflow 0
		.amdhsa_exception_fp_ieee_inexact 0
		.amdhsa_exception_int_div_zero 0
	.end_amdhsa_kernel
	.section	.text._ZN7rocprim17ROCPRIM_304000_NS6detail25onesweep_iteration_kernelINS1_34wrapped_radix_sort_onesweep_configINS0_14default_configEiN2at4cuda3cub6detail10OpaqueTypeILi4EEEEELb0EPiSC_PSA_SD_mNS0_19identity_decomposerEEEvT1_T2_T3_T4_jPT5_SK_PNS1_23onesweep_lookback_stateET6_jjj,"axG",@progbits,_ZN7rocprim17ROCPRIM_304000_NS6detail25onesweep_iteration_kernelINS1_34wrapped_radix_sort_onesweep_configINS0_14default_configEiN2at4cuda3cub6detail10OpaqueTypeILi4EEEEELb0EPiSC_PSA_SD_mNS0_19identity_decomposerEEEvT1_T2_T3_T4_jPT5_SK_PNS1_23onesweep_lookback_stateET6_jjj,comdat
.Lfunc_end25:
	.size	_ZN7rocprim17ROCPRIM_304000_NS6detail25onesweep_iteration_kernelINS1_34wrapped_radix_sort_onesweep_configINS0_14default_configEiN2at4cuda3cub6detail10OpaqueTypeILi4EEEEELb0EPiSC_PSA_SD_mNS0_19identity_decomposerEEEvT1_T2_T3_T4_jPT5_SK_PNS1_23onesweep_lookback_stateET6_jjj, .Lfunc_end25-_ZN7rocprim17ROCPRIM_304000_NS6detail25onesweep_iteration_kernelINS1_34wrapped_radix_sort_onesweep_configINS0_14default_configEiN2at4cuda3cub6detail10OpaqueTypeILi4EEEEELb0EPiSC_PSA_SD_mNS0_19identity_decomposerEEEvT1_T2_T3_T4_jPT5_SK_PNS1_23onesweep_lookback_stateET6_jjj
                                        ; -- End function
	.set _ZN7rocprim17ROCPRIM_304000_NS6detail25onesweep_iteration_kernelINS1_34wrapped_radix_sort_onesweep_configINS0_14default_configEiN2at4cuda3cub6detail10OpaqueTypeILi4EEEEELb0EPiSC_PSA_SD_mNS0_19identity_decomposerEEEvT1_T2_T3_T4_jPT5_SK_PNS1_23onesweep_lookback_stateET6_jjj.num_vgpr, 65
	.set _ZN7rocprim17ROCPRIM_304000_NS6detail25onesweep_iteration_kernelINS1_34wrapped_radix_sort_onesweep_configINS0_14default_configEiN2at4cuda3cub6detail10OpaqueTypeILi4EEEEELb0EPiSC_PSA_SD_mNS0_19identity_decomposerEEEvT1_T2_T3_T4_jPT5_SK_PNS1_23onesweep_lookback_stateET6_jjj.num_agpr, 0
	.set _ZN7rocprim17ROCPRIM_304000_NS6detail25onesweep_iteration_kernelINS1_34wrapped_radix_sort_onesweep_configINS0_14default_configEiN2at4cuda3cub6detail10OpaqueTypeILi4EEEEELb0EPiSC_PSA_SD_mNS0_19identity_decomposerEEEvT1_T2_T3_T4_jPT5_SK_PNS1_23onesweep_lookback_stateET6_jjj.numbered_sgpr, 76
	.set _ZN7rocprim17ROCPRIM_304000_NS6detail25onesweep_iteration_kernelINS1_34wrapped_radix_sort_onesweep_configINS0_14default_configEiN2at4cuda3cub6detail10OpaqueTypeILi4EEEEELb0EPiSC_PSA_SD_mNS0_19identity_decomposerEEEvT1_T2_T3_T4_jPT5_SK_PNS1_23onesweep_lookback_stateET6_jjj.num_named_barrier, 0
	.set _ZN7rocprim17ROCPRIM_304000_NS6detail25onesweep_iteration_kernelINS1_34wrapped_radix_sort_onesweep_configINS0_14default_configEiN2at4cuda3cub6detail10OpaqueTypeILi4EEEEELb0EPiSC_PSA_SD_mNS0_19identity_decomposerEEEvT1_T2_T3_T4_jPT5_SK_PNS1_23onesweep_lookback_stateET6_jjj.private_seg_size, 0
	.set _ZN7rocprim17ROCPRIM_304000_NS6detail25onesweep_iteration_kernelINS1_34wrapped_radix_sort_onesweep_configINS0_14default_configEiN2at4cuda3cub6detail10OpaqueTypeILi4EEEEELb0EPiSC_PSA_SD_mNS0_19identity_decomposerEEEvT1_T2_T3_T4_jPT5_SK_PNS1_23onesweep_lookback_stateET6_jjj.uses_vcc, 1
	.set _ZN7rocprim17ROCPRIM_304000_NS6detail25onesweep_iteration_kernelINS1_34wrapped_radix_sort_onesweep_configINS0_14default_configEiN2at4cuda3cub6detail10OpaqueTypeILi4EEEEELb0EPiSC_PSA_SD_mNS0_19identity_decomposerEEEvT1_T2_T3_T4_jPT5_SK_PNS1_23onesweep_lookback_stateET6_jjj.uses_flat_scratch, 0
	.set _ZN7rocprim17ROCPRIM_304000_NS6detail25onesweep_iteration_kernelINS1_34wrapped_radix_sort_onesweep_configINS0_14default_configEiN2at4cuda3cub6detail10OpaqueTypeILi4EEEEELb0EPiSC_PSA_SD_mNS0_19identity_decomposerEEEvT1_T2_T3_T4_jPT5_SK_PNS1_23onesweep_lookback_stateET6_jjj.has_dyn_sized_stack, 0
	.set _ZN7rocprim17ROCPRIM_304000_NS6detail25onesweep_iteration_kernelINS1_34wrapped_radix_sort_onesweep_configINS0_14default_configEiN2at4cuda3cub6detail10OpaqueTypeILi4EEEEELb0EPiSC_PSA_SD_mNS0_19identity_decomposerEEEvT1_T2_T3_T4_jPT5_SK_PNS1_23onesweep_lookback_stateET6_jjj.has_recursion, 0
	.set _ZN7rocprim17ROCPRIM_304000_NS6detail25onesweep_iteration_kernelINS1_34wrapped_radix_sort_onesweep_configINS0_14default_configEiN2at4cuda3cub6detail10OpaqueTypeILi4EEEEELb0EPiSC_PSA_SD_mNS0_19identity_decomposerEEEvT1_T2_T3_T4_jPT5_SK_PNS1_23onesweep_lookback_stateET6_jjj.has_indirect_call, 0
	.section	.AMDGPU.csdata,"",@progbits
; Kernel info:
; codeLenInByte = 16176
; TotalNumSgprs: 82
; NumVgprs: 65
; NumAgprs: 0
; TotalNumVgprs: 65
; ScratchSize: 0
; MemoryBound: 0
; FloatMode: 240
; IeeeMode: 1
; LDSByteSize: 24832 bytes/workgroup (compile time only)
; SGPRBlocks: 10
; VGPRBlocks: 8
; NumSGPRsForWavesPerEU: 82
; NumVGPRsForWavesPerEU: 65
; AccumOffset: 68
; Occupancy: 7
; WaveLimiterHint : 1
; COMPUTE_PGM_RSRC2:SCRATCH_EN: 0
; COMPUTE_PGM_RSRC2:USER_SGPR: 2
; COMPUTE_PGM_RSRC2:TRAP_HANDLER: 0
; COMPUTE_PGM_RSRC2:TGID_X_EN: 1
; COMPUTE_PGM_RSRC2:TGID_Y_EN: 0
; COMPUTE_PGM_RSRC2:TGID_Z_EN: 0
; COMPUTE_PGM_RSRC2:TIDIG_COMP_CNT: 2
; COMPUTE_PGM_RSRC3_GFX90A:ACCUM_OFFSET: 16
; COMPUTE_PGM_RSRC3_GFX90A:TG_SPLIT: 0
	.section	.AMDGPU.gpr_maximums,"",@progbits
	.set amdgpu.max_num_vgpr, 0
	.set amdgpu.max_num_agpr, 0
	.set amdgpu.max_num_sgpr, 0
	.section	.AMDGPU.csdata,"",@progbits
	.type	__hip_cuid_110f498333d1ada8,@object ; @__hip_cuid_110f498333d1ada8
	.section	.bss,"aw",@nobits
	.globl	__hip_cuid_110f498333d1ada8
__hip_cuid_110f498333d1ada8:
	.byte	0                               ; 0x0
	.size	__hip_cuid_110f498333d1ada8, 1

	.ident	"AMD clang version 22.0.0git (https://github.com/RadeonOpenCompute/llvm-project roc-7.2.4 26084 f58b06dce1f9c15707c5f808fd002e18c2accf7e)"
	.section	".note.GNU-stack","",@progbits
	.addrsig
	.addrsig_sym __hip_cuid_110f498333d1ada8
	.amdgpu_metadata
---
amdhsa.kernels:
  - .agpr_count:     0
    .args:
      - .address_space:  global
        .offset:         0
        .size:           8
        .value_kind:     global_buffer
      - .address_space:  global
        .offset:         8
        .size:           8
        .value_kind:     global_buffer
      - .address_space:  global
        .offset:         16
        .size:           8
        .value_kind:     global_buffer
      - .address_space:  global
        .offset:         24
        .size:           8
        .value_kind:     global_buffer
      - .offset:         32
        .size:           4
        .value_kind:     by_value
      - .offset:         36
        .size:           1
        .value_kind:     by_value
      - .offset:         40
        .size:           4
        .value_kind:     by_value
      - .offset:         44
        .size:           4
        .value_kind:     by_value
      - .offset:         48
        .size:           4
        .value_kind:     hidden_block_count_x
      - .offset:         52
        .size:           4
        .value_kind:     hidden_block_count_y
      - .offset:         56
        .size:           4
        .value_kind:     hidden_block_count_z
      - .offset:         60
        .size:           2
        .value_kind:     hidden_group_size_x
      - .offset:         62
        .size:           2
        .value_kind:     hidden_group_size_y
      - .offset:         64
        .size:           2
        .value_kind:     hidden_group_size_z
      - .offset:         66
        .size:           2
        .value_kind:     hidden_remainder_x
      - .offset:         68
        .size:           2
        .value_kind:     hidden_remainder_y
      - .offset:         70
        .size:           2
        .value_kind:     hidden_remainder_z
      - .offset:         88
        .size:           8
        .value_kind:     hidden_global_offset_x
      - .offset:         96
        .size:           8
        .value_kind:     hidden_global_offset_y
      - .offset:         104
        .size:           8
        .value_kind:     hidden_global_offset_z
      - .offset:         112
        .size:           2
        .value_kind:     hidden_grid_dims
    .group_segment_fixed_size: 4112
    .kernarg_segment_align: 8
    .kernarg_segment_size: 304
    .language:       OpenCL C
    .language_version:
      - 2
      - 0
    .max_flat_workgroup_size: 256
    .name:           _ZN7rocprim17ROCPRIM_304000_NS6detail28radix_sort_block_sort_kernelINS1_36wrapped_radix_sort_block_sort_configINS0_13kernel_configILj256ELj4ELj4294967295EEEiN2at4cuda3cub6detail10OpaqueTypeILi4EEEEELb1EPKiPiPKSB_PSB_NS0_19identity_decomposerEEEvT1_T2_T3_T4_jT5_jj
    .private_segment_fixed_size: 0
    .sgpr_count:     50
    .sgpr_spill_count: 0
    .symbol:         _ZN7rocprim17ROCPRIM_304000_NS6detail28radix_sort_block_sort_kernelINS1_36wrapped_radix_sort_block_sort_configINS0_13kernel_configILj256ELj4ELj4294967295EEEiN2at4cuda3cub6detail10OpaqueTypeILi4EEEEELb1EPKiPiPKSB_PSB_NS0_19identity_decomposerEEEvT1_T2_T3_T4_jT5_jj.kd
    .uniform_work_group_size: 1
    .uses_dynamic_stack: false
    .vgpr_count:     40
    .vgpr_spill_count: 0
    .wavefront_size: 64
  - .agpr_count:     0
    .args:           []
    .group_segment_fixed_size: 0
    .kernarg_segment_align: 4
    .kernarg_segment_size: 0
    .language:       OpenCL C
    .language_version:
      - 2
      - 0
    .max_flat_workgroup_size: 1024
    .name:           _ZN7rocprim17ROCPRIM_304000_NS6detail39device_merge_sort_compile_time_verifierINS1_36wrapped_merge_sort_block_sort_configINS1_28merge_sort_block_sort_configILj256ELj4ELNS0_20block_sort_algorithmE0EEEiN2at4cuda3cub6detail10OpaqueTypeILi4EEEEENS1_37wrapped_merge_sort_block_merge_configINS0_14default_configEiSC_EEEEvv
    .private_segment_fixed_size: 0
    .sgpr_count:     6
    .sgpr_spill_count: 0
    .symbol:         _ZN7rocprim17ROCPRIM_304000_NS6detail39device_merge_sort_compile_time_verifierINS1_36wrapped_merge_sort_block_sort_configINS1_28merge_sort_block_sort_configILj256ELj4ELNS0_20block_sort_algorithmE0EEEiN2at4cuda3cub6detail10OpaqueTypeILi4EEEEENS1_37wrapped_merge_sort_block_merge_configINS0_14default_configEiSC_EEEEvv.kd
    .uniform_work_group_size: 1
    .uses_dynamic_stack: false
    .vgpr_count:     0
    .vgpr_spill_count: 0
    .wavefront_size: 64
  - .agpr_count:     0
    .args:
      - .address_space:  global
        .offset:         0
        .size:           8
        .value_kind:     global_buffer
      - .offset:         8
        .size:           4
        .value_kind:     by_value
      - .offset:         12
        .size:           4
        .value_kind:     by_value
      - .address_space:  global
        .offset:         16
        .size:           8
        .value_kind:     global_buffer
      - .offset:         24
        .size:           1
        .value_kind:     by_value
      - .offset:         28
        .size:           4
        .value_kind:     by_value
    .group_segment_fixed_size: 0
    .kernarg_segment_align: 8
    .kernarg_segment_size: 32
    .language:       OpenCL C
    .language_version:
      - 2
      - 0
    .max_flat_workgroup_size: 128
    .name:           _ZN7rocprim17ROCPRIM_304000_NS6detail45device_block_merge_mergepath_partition_kernelINS1_37wrapped_merge_sort_block_merge_configINS0_14default_configEiN2at4cuda3cub6detail10OpaqueTypeILi4EEEEEPijNS1_19radix_merge_compareILb1ELb0EiNS0_19identity_decomposerEEEEEvT0_T1_jPSH_T2_SH_
    .private_segment_fixed_size: 0
    .sgpr_count:     12
    .sgpr_spill_count: 0
    .symbol:         _ZN7rocprim17ROCPRIM_304000_NS6detail45device_block_merge_mergepath_partition_kernelINS1_37wrapped_merge_sort_block_merge_configINS0_14default_configEiN2at4cuda3cub6detail10OpaqueTypeILi4EEEEEPijNS1_19radix_merge_compareILb1ELb0EiNS0_19identity_decomposerEEEEEvT0_T1_jPSH_T2_SH_.kd
    .uniform_work_group_size: 1
    .uses_dynamic_stack: false
    .vgpr_count:     17
    .vgpr_spill_count: 0
    .wavefront_size: 64
  - .agpr_count:     0
    .args:
      - .address_space:  global
        .offset:         0
        .size:           8
        .value_kind:     global_buffer
      - .address_space:  global
        .offset:         8
        .size:           8
        .value_kind:     global_buffer
      - .address_space:  global
        .offset:         16
        .size:           8
        .value_kind:     global_buffer
      - .address_space:  global
        .offset:         24
        .size:           8
        .value_kind:     global_buffer
      - .offset:         32
        .size:           4
        .value_kind:     by_value
      - .offset:         36
        .size:           4
        .value_kind:     by_value
      - .offset:         40
        .size:           4
        .value_kind:     by_value
      - .offset:         44
        .size:           1
        .value_kind:     by_value
      - .address_space:  global
        .offset:         48
        .size:           8
        .value_kind:     global_buffer
      - .address_space:  global
        .offset:         56
        .size:           8
        .value_kind:     global_buffer
      - .offset:         64
        .size:           4
        .value_kind:     hidden_block_count_x
      - .offset:         68
        .size:           4
        .value_kind:     hidden_block_count_y
      - .offset:         72
        .size:           4
        .value_kind:     hidden_block_count_z
      - .offset:         76
        .size:           2
        .value_kind:     hidden_group_size_x
      - .offset:         78
        .size:           2
        .value_kind:     hidden_group_size_y
      - .offset:         80
        .size:           2
        .value_kind:     hidden_group_size_z
      - .offset:         82
        .size:           2
        .value_kind:     hidden_remainder_x
      - .offset:         84
        .size:           2
        .value_kind:     hidden_remainder_y
      - .offset:         86
        .size:           2
        .value_kind:     hidden_remainder_z
      - .offset:         104
        .size:           8
        .value_kind:     hidden_global_offset_x
      - .offset:         112
        .size:           8
        .value_kind:     hidden_global_offset_y
      - .offset:         120
        .size:           8
        .value_kind:     hidden_global_offset_z
      - .offset:         128
        .size:           2
        .value_kind:     hidden_grid_dims
    .group_segment_fixed_size: 4224
    .kernarg_segment_align: 8
    .kernarg_segment_size: 320
    .language:       OpenCL C
    .language_version:
      - 2
      - 0
    .max_flat_workgroup_size: 256
    .name:           _ZN7rocprim17ROCPRIM_304000_NS6detail35device_block_merge_mergepath_kernelINS1_37wrapped_merge_sort_block_merge_configINS0_14default_configEiN2at4cuda3cub6detail10OpaqueTypeILi4EEEEEPiSC_PSA_SD_jNS1_19radix_merge_compareILb1ELb0EiNS0_19identity_decomposerEEEEEvT0_T1_T2_T3_T4_SL_jT5_PKSL_NS1_7vsmem_tE
    .private_segment_fixed_size: 0
    .sgpr_count:     42
    .sgpr_spill_count: 0
    .symbol:         _ZN7rocprim17ROCPRIM_304000_NS6detail35device_block_merge_mergepath_kernelINS1_37wrapped_merge_sort_block_merge_configINS0_14default_configEiN2at4cuda3cub6detail10OpaqueTypeILi4EEEEEPiSC_PSA_SD_jNS1_19radix_merge_compareILb1ELb0EiNS0_19identity_decomposerEEEEEvT0_T1_T2_T3_T4_SL_jT5_PKSL_NS1_7vsmem_tE.kd
    .uniform_work_group_size: 1
    .uses_dynamic_stack: false
    .vgpr_count:     21
    .vgpr_spill_count: 0
    .wavefront_size: 64
  - .agpr_count:     0
    .args:
      - .address_space:  global
        .offset:         0
        .size:           8
        .value_kind:     global_buffer
      - .address_space:  global
        .offset:         8
        .size:           8
        .value_kind:     global_buffer
      - .address_space:  global
        .offset:         16
        .size:           8
        .value_kind:     global_buffer
      - .address_space:  global
        .offset:         24
        .size:           8
        .value_kind:     global_buffer
      - .offset:         32
        .size:           4
        .value_kind:     by_value
      - .offset:         36
        .size:           4
        .value_kind:     by_value
      - .offset:         40
        .size:           1
        .value_kind:     by_value
    .group_segment_fixed_size: 0
    .kernarg_segment_align: 8
    .kernarg_segment_size: 44
    .language:       OpenCL C
    .language_version:
      - 2
      - 0
    .max_flat_workgroup_size: 256
    .name:           _ZN7rocprim17ROCPRIM_304000_NS6detail33device_block_merge_oddeven_kernelINS1_37wrapped_merge_sort_block_merge_configINS0_14default_configEiN2at4cuda3cub6detail10OpaqueTypeILi4EEEEEPiSC_PSA_SD_jNS1_19radix_merge_compareILb1ELb0EiNS0_19identity_decomposerEEEEEvT0_T1_T2_T3_T4_SL_T5_
    .private_segment_fixed_size: 0
    .sgpr_count:     28
    .sgpr_spill_count: 0
    .symbol:         _ZN7rocprim17ROCPRIM_304000_NS6detail33device_block_merge_oddeven_kernelINS1_37wrapped_merge_sort_block_merge_configINS0_14default_configEiN2at4cuda3cub6detail10OpaqueTypeILi4EEEEEPiSC_PSA_SD_jNS1_19radix_merge_compareILb1ELb0EiNS0_19identity_decomposerEEEEEvT0_T1_T2_T3_T4_SL_T5_.kd
    .uniform_work_group_size: 1
    .uses_dynamic_stack: false
    .vgpr_count:     10
    .vgpr_spill_count: 0
    .wavefront_size: 64
  - .agpr_count:     0
    .args:
      - .address_space:  global
        .offset:         0
        .size:           8
        .value_kind:     global_buffer
      - .offset:         8
        .size:           8
        .value_kind:     by_value
      - .address_space:  global
        .offset:         16
        .size:           8
        .value_kind:     global_buffer
      - .offset:         24
        .size:           1
        .value_kind:     by_value
      - .offset:         32
        .size:           4
        .value_kind:     hidden_block_count_x
      - .offset:         36
        .size:           4
        .value_kind:     hidden_block_count_y
      - .offset:         40
        .size:           4
        .value_kind:     hidden_block_count_z
      - .offset:         44
        .size:           2
        .value_kind:     hidden_group_size_x
      - .offset:         46
        .size:           2
        .value_kind:     hidden_group_size_y
      - .offset:         48
        .size:           2
        .value_kind:     hidden_group_size_z
      - .offset:         50
        .size:           2
        .value_kind:     hidden_remainder_x
      - .offset:         52
        .size:           2
        .value_kind:     hidden_remainder_y
      - .offset:         54
        .size:           2
        .value_kind:     hidden_remainder_z
      - .offset:         72
        .size:           8
        .value_kind:     hidden_global_offset_x
      - .offset:         80
        .size:           8
        .value_kind:     hidden_global_offset_y
      - .offset:         88
        .size:           8
        .value_kind:     hidden_global_offset_z
      - .offset:         96
        .size:           2
        .value_kind:     hidden_grid_dims
    .group_segment_fixed_size: 0
    .kernarg_segment_align: 8
    .kernarg_segment_size: 288
    .language:       OpenCL C
    .language_version:
      - 2
      - 0
    .max_flat_workgroup_size: 128
    .name:           _ZN7rocprim17ROCPRIM_304000_NS6detail16transform_kernelINS1_24wrapped_transform_configINS0_14default_configEiEEiPiS6_NS0_8identityIiEEEEvT1_mT2_T3_
    .private_segment_fixed_size: 0
    .sgpr_count:     18
    .sgpr_spill_count: 0
    .symbol:         _ZN7rocprim17ROCPRIM_304000_NS6detail16transform_kernelINS1_24wrapped_transform_configINS0_14default_configEiEEiPiS6_NS0_8identityIiEEEEvT1_mT2_T3_.kd
    .uniform_work_group_size: 1
    .uses_dynamic_stack: false
    .vgpr_count:     10
    .vgpr_spill_count: 0
    .wavefront_size: 64
  - .agpr_count:     0
    .args:
      - .address_space:  global
        .offset:         0
        .size:           8
        .value_kind:     global_buffer
      - .offset:         8
        .size:           8
        .value_kind:     by_value
      - .address_space:  global
        .offset:         16
        .size:           8
        .value_kind:     global_buffer
      - .offset:         24
        .size:           1
        .value_kind:     by_value
      - .offset:         32
        .size:           4
        .value_kind:     hidden_block_count_x
      - .offset:         36
        .size:           4
        .value_kind:     hidden_block_count_y
      - .offset:         40
        .size:           4
        .value_kind:     hidden_block_count_z
      - .offset:         44
        .size:           2
        .value_kind:     hidden_group_size_x
      - .offset:         46
        .size:           2
        .value_kind:     hidden_group_size_y
      - .offset:         48
        .size:           2
        .value_kind:     hidden_group_size_z
      - .offset:         50
        .size:           2
        .value_kind:     hidden_remainder_x
      - .offset:         52
        .size:           2
        .value_kind:     hidden_remainder_y
      - .offset:         54
        .size:           2
        .value_kind:     hidden_remainder_z
      - .offset:         72
        .size:           8
        .value_kind:     hidden_global_offset_x
      - .offset:         80
        .size:           8
        .value_kind:     hidden_global_offset_y
      - .offset:         88
        .size:           8
        .value_kind:     hidden_global_offset_z
      - .offset:         96
        .size:           2
        .value_kind:     hidden_grid_dims
    .group_segment_fixed_size: 0
    .kernarg_segment_align: 8
    .kernarg_segment_size: 288
    .language:       OpenCL C
    .language_version:
      - 2
      - 0
    .max_flat_workgroup_size: 128
    .name:           _ZN7rocprim17ROCPRIM_304000_NS6detail16transform_kernelINS1_24wrapped_transform_configINS0_14default_configEN2at4cuda3cub6detail10OpaqueTypeILi4EEEEESA_PSA_SC_NS0_8identityISA_EEEEvT1_mT2_T3_
    .private_segment_fixed_size: 0
    .sgpr_count:     18
    .sgpr_spill_count: 0
    .symbol:         _ZN7rocprim17ROCPRIM_304000_NS6detail16transform_kernelINS1_24wrapped_transform_configINS0_14default_configEN2at4cuda3cub6detail10OpaqueTypeILi4EEEEESA_PSA_SC_NS0_8identityISA_EEEEvT1_mT2_T3_.kd
    .uniform_work_group_size: 1
    .uses_dynamic_stack: false
    .vgpr_count:     6
    .vgpr_spill_count: 0
    .wavefront_size: 64
  - .agpr_count:     0
    .args:
      - .address_space:  global
        .offset:         0
        .size:           8
        .value_kind:     global_buffer
      - .offset:         8
        .size:           4
        .value_kind:     by_value
      - .offset:         12
        .size:           4
        .value_kind:     by_value
      - .address_space:  global
        .offset:         16
        .size:           8
        .value_kind:     global_buffer
      - .offset:         24
        .size:           4
        .value_kind:     by_value
      - .offset:         28
        .size:           4
        .value_kind:     by_value
    .group_segment_fixed_size: 0
    .kernarg_segment_align: 8
    .kernarg_segment_size: 32
    .language:       OpenCL C
    .language_version:
      - 2
      - 0
    .max_flat_workgroup_size: 128
    .name:           _ZN7rocprim17ROCPRIM_304000_NS6detail45device_block_merge_mergepath_partition_kernelINS1_37wrapped_merge_sort_block_merge_configINS0_14default_configEiN2at4cuda3cub6detail10OpaqueTypeILi4EEEEEPijNS1_19radix_merge_compareILb1ELb1EiNS0_19identity_decomposerEEEEEvT0_T1_jPSH_T2_SH_
    .private_segment_fixed_size: 0
    .sgpr_count:     14
    .sgpr_spill_count: 0
    .symbol:         _ZN7rocprim17ROCPRIM_304000_NS6detail45device_block_merge_mergepath_partition_kernelINS1_37wrapped_merge_sort_block_merge_configINS0_14default_configEiN2at4cuda3cub6detail10OpaqueTypeILi4EEEEEPijNS1_19radix_merge_compareILb1ELb1EiNS0_19identity_decomposerEEEEEvT0_T1_jPSH_T2_SH_.kd
    .uniform_work_group_size: 1
    .uses_dynamic_stack: false
    .vgpr_count:     17
    .vgpr_spill_count: 0
    .wavefront_size: 64
  - .agpr_count:     0
    .args:
      - .address_space:  global
        .offset:         0
        .size:           8
        .value_kind:     global_buffer
      - .address_space:  global
        .offset:         8
        .size:           8
        .value_kind:     global_buffer
      - .address_space:  global
        .offset:         16
        .size:           8
        .value_kind:     global_buffer
      - .address_space:  global
        .offset:         24
        .size:           8
        .value_kind:     global_buffer
      - .offset:         32
        .size:           4
        .value_kind:     by_value
      - .offset:         36
        .size:           4
        .value_kind:     by_value
      - .offset:         40
        .size:           4
        .value_kind:     by_value
      - .offset:         44
        .size:           4
        .value_kind:     by_value
      - .address_space:  global
        .offset:         48
        .size:           8
        .value_kind:     global_buffer
      - .address_space:  global
        .offset:         56
        .size:           8
        .value_kind:     global_buffer
      - .offset:         64
        .size:           4
        .value_kind:     hidden_block_count_x
      - .offset:         68
        .size:           4
        .value_kind:     hidden_block_count_y
      - .offset:         72
        .size:           4
        .value_kind:     hidden_block_count_z
      - .offset:         76
        .size:           2
        .value_kind:     hidden_group_size_x
      - .offset:         78
        .size:           2
        .value_kind:     hidden_group_size_y
      - .offset:         80
        .size:           2
        .value_kind:     hidden_group_size_z
      - .offset:         82
        .size:           2
        .value_kind:     hidden_remainder_x
      - .offset:         84
        .size:           2
        .value_kind:     hidden_remainder_y
      - .offset:         86
        .size:           2
        .value_kind:     hidden_remainder_z
      - .offset:         104
        .size:           8
        .value_kind:     hidden_global_offset_x
      - .offset:         112
        .size:           8
        .value_kind:     hidden_global_offset_y
      - .offset:         120
        .size:           8
        .value_kind:     hidden_global_offset_z
      - .offset:         128
        .size:           2
        .value_kind:     hidden_grid_dims
    .group_segment_fixed_size: 4224
    .kernarg_segment_align: 8
    .kernarg_segment_size: 320
    .language:       OpenCL C
    .language_version:
      - 2
      - 0
    .max_flat_workgroup_size: 256
    .name:           _ZN7rocprim17ROCPRIM_304000_NS6detail35device_block_merge_mergepath_kernelINS1_37wrapped_merge_sort_block_merge_configINS0_14default_configEiN2at4cuda3cub6detail10OpaqueTypeILi4EEEEEPiSC_PSA_SD_jNS1_19radix_merge_compareILb1ELb1EiNS0_19identity_decomposerEEEEEvT0_T1_T2_T3_T4_SL_jT5_PKSL_NS1_7vsmem_tE
    .private_segment_fixed_size: 0
    .sgpr_count:     43
    .sgpr_spill_count: 0
    .symbol:         _ZN7rocprim17ROCPRIM_304000_NS6detail35device_block_merge_mergepath_kernelINS1_37wrapped_merge_sort_block_merge_configINS0_14default_configEiN2at4cuda3cub6detail10OpaqueTypeILi4EEEEEPiSC_PSA_SD_jNS1_19radix_merge_compareILb1ELb1EiNS0_19identity_decomposerEEEEEvT0_T1_T2_T3_T4_SL_jT5_PKSL_NS1_7vsmem_tE.kd
    .uniform_work_group_size: 1
    .uses_dynamic_stack: false
    .vgpr_count:     21
    .vgpr_spill_count: 0
    .wavefront_size: 64
  - .agpr_count:     0
    .args:
      - .address_space:  global
        .offset:         0
        .size:           8
        .value_kind:     global_buffer
      - .address_space:  global
        .offset:         8
        .size:           8
        .value_kind:     global_buffer
      - .address_space:  global
        .offset:         16
        .size:           8
        .value_kind:     global_buffer
      - .address_space:  global
        .offset:         24
        .size:           8
        .value_kind:     global_buffer
      - .offset:         32
        .size:           4
        .value_kind:     by_value
      - .offset:         36
        .size:           4
        .value_kind:     by_value
      - .offset:         40
        .size:           4
        .value_kind:     by_value
    .group_segment_fixed_size: 0
    .kernarg_segment_align: 8
    .kernarg_segment_size: 44
    .language:       OpenCL C
    .language_version:
      - 2
      - 0
    .max_flat_workgroup_size: 256
    .name:           _ZN7rocprim17ROCPRIM_304000_NS6detail33device_block_merge_oddeven_kernelINS1_37wrapped_merge_sort_block_merge_configINS0_14default_configEiN2at4cuda3cub6detail10OpaqueTypeILi4EEEEEPiSC_PSA_SD_jNS1_19radix_merge_compareILb1ELb1EiNS0_19identity_decomposerEEEEEvT0_T1_T2_T3_T4_SL_T5_
    .private_segment_fixed_size: 0
    .sgpr_count:     30
    .sgpr_spill_count: 0
    .symbol:         _ZN7rocprim17ROCPRIM_304000_NS6detail33device_block_merge_oddeven_kernelINS1_37wrapped_merge_sort_block_merge_configINS0_14default_configEiN2at4cuda3cub6detail10OpaqueTypeILi4EEEEEPiSC_PSA_SD_jNS1_19radix_merge_compareILb1ELb1EiNS0_19identity_decomposerEEEEEvT0_T1_T2_T3_T4_SL_T5_.kd
    .uniform_work_group_size: 1
    .uses_dynamic_stack: false
    .vgpr_count:     11
    .vgpr_spill_count: 0
    .wavefront_size: 64
  - .agpr_count:     0
    .args:
      - .address_space:  global
        .offset:         0
        .size:           8
        .value_kind:     global_buffer
      - .address_space:  global
        .offset:         8
        .size:           8
        .value_kind:     global_buffer
      - .offset:         16
        .size:           8
        .value_kind:     by_value
      - .offset:         24
        .size:           8
        .value_kind:     by_value
      - .offset:         32
        .size:           1
        .value_kind:     by_value
      - .offset:         36
        .size:           4
        .value_kind:     by_value
      - .offset:         40
        .size:           4
        .value_kind:     by_value
    .group_segment_fixed_size: 3584
    .kernarg_segment_align: 8
    .kernarg_segment_size: 44
    .language:       OpenCL C
    .language_version:
      - 2
      - 0
    .max_flat_workgroup_size: 512
    .name:           _ZN7rocprim17ROCPRIM_304000_NS6detail26onesweep_histograms_kernelINS1_34wrapped_radix_sort_onesweep_configINS0_14default_configEiN2at4cuda3cub6detail10OpaqueTypeILi4EEEEELb1EPKimNS0_19identity_decomposerEEEvT1_PT2_SG_SG_T3_jj
    .private_segment_fixed_size: 0
    .sgpr_count:     48
    .sgpr_spill_count: 0
    .symbol:         _ZN7rocprim17ROCPRIM_304000_NS6detail26onesweep_histograms_kernelINS1_34wrapped_radix_sort_onesweep_configINS0_14default_configEiN2at4cuda3cub6detail10OpaqueTypeILi4EEEEELb1EPKimNS0_19identity_decomposerEEEvT1_PT2_SG_SG_T3_jj.kd
    .uniform_work_group_size: 1
    .uses_dynamic_stack: false
    .vgpr_count:     24
    .vgpr_spill_count: 0
    .wavefront_size: 64
  - .agpr_count:     0
    .args:
      - .address_space:  global
        .offset:         0
        .size:           8
        .value_kind:     global_buffer
    .group_segment_fixed_size: 64
    .kernarg_segment_align: 8
    .kernarg_segment_size: 8
    .language:       OpenCL C
    .language_version:
      - 2
      - 0
    .max_flat_workgroup_size: 512
    .name:           _ZN7rocprim17ROCPRIM_304000_NS6detail31onesweep_scan_histograms_kernelINS1_34wrapped_radix_sort_onesweep_configINS0_14default_configEiN2at4cuda3cub6detail10OpaqueTypeILi4EEEEEmEEvPT0_
    .private_segment_fixed_size: 0
    .sgpr_count:     16
    .sgpr_spill_count: 0
    .symbol:         _ZN7rocprim17ROCPRIM_304000_NS6detail31onesweep_scan_histograms_kernelINS1_34wrapped_radix_sort_onesweep_configINS0_14default_configEiN2at4cuda3cub6detail10OpaqueTypeILi4EEEEEmEEvPT0_.kd
    .uniform_work_group_size: 1
    .uses_dynamic_stack: false
    .vgpr_count:     16
    .vgpr_spill_count: 0
    .wavefront_size: 64
  - .agpr_count:     0
    .args:
      - .address_space:  global
        .offset:         0
        .size:           8
        .value_kind:     global_buffer
      - .offset:         8
        .size:           8
        .value_kind:     by_value
      - .address_space:  global
        .offset:         16
        .size:           8
        .value_kind:     global_buffer
      - .offset:         24
        .size:           1
        .value_kind:     by_value
      - .offset:         32
        .size:           4
        .value_kind:     hidden_block_count_x
      - .offset:         36
        .size:           4
        .value_kind:     hidden_block_count_y
      - .offset:         40
        .size:           4
        .value_kind:     hidden_block_count_z
      - .offset:         44
        .size:           2
        .value_kind:     hidden_group_size_x
      - .offset:         46
        .size:           2
        .value_kind:     hidden_group_size_y
      - .offset:         48
        .size:           2
        .value_kind:     hidden_group_size_z
      - .offset:         50
        .size:           2
        .value_kind:     hidden_remainder_x
      - .offset:         52
        .size:           2
        .value_kind:     hidden_remainder_y
      - .offset:         54
        .size:           2
        .value_kind:     hidden_remainder_z
      - .offset:         72
        .size:           8
        .value_kind:     hidden_global_offset_x
      - .offset:         80
        .size:           8
        .value_kind:     hidden_global_offset_y
      - .offset:         88
        .size:           8
        .value_kind:     hidden_global_offset_z
      - .offset:         96
        .size:           2
        .value_kind:     hidden_grid_dims
    .group_segment_fixed_size: 0
    .kernarg_segment_align: 8
    .kernarg_segment_size: 288
    .language:       OpenCL C
    .language_version:
      - 2
      - 0
    .max_flat_workgroup_size: 128
    .name:           _ZN7rocprim17ROCPRIM_304000_NS6detail16transform_kernelINS1_24wrapped_transform_configINS0_14default_configEiEEiPKiPiNS0_8identityIiEEEEvT1_mT2_T3_
    .private_segment_fixed_size: 0
    .sgpr_count:     18
    .sgpr_spill_count: 0
    .symbol:         _ZN7rocprim17ROCPRIM_304000_NS6detail16transform_kernelINS1_24wrapped_transform_configINS0_14default_configEiEEiPKiPiNS0_8identityIiEEEEvT1_mT2_T3_.kd
    .uniform_work_group_size: 1
    .uses_dynamic_stack: false
    .vgpr_count:     10
    .vgpr_spill_count: 0
    .wavefront_size: 64
  - .agpr_count:     0
    .args:
      - .address_space:  global
        .offset:         0
        .size:           8
        .value_kind:     global_buffer
      - .offset:         8
        .size:           8
        .value_kind:     by_value
      - .address_space:  global
        .offset:         16
        .size:           8
        .value_kind:     global_buffer
      - .offset:         24
        .size:           1
        .value_kind:     by_value
      - .offset:         32
        .size:           4
        .value_kind:     hidden_block_count_x
      - .offset:         36
        .size:           4
        .value_kind:     hidden_block_count_y
      - .offset:         40
        .size:           4
        .value_kind:     hidden_block_count_z
      - .offset:         44
        .size:           2
        .value_kind:     hidden_group_size_x
      - .offset:         46
        .size:           2
        .value_kind:     hidden_group_size_y
      - .offset:         48
        .size:           2
        .value_kind:     hidden_group_size_z
      - .offset:         50
        .size:           2
        .value_kind:     hidden_remainder_x
      - .offset:         52
        .size:           2
        .value_kind:     hidden_remainder_y
      - .offset:         54
        .size:           2
        .value_kind:     hidden_remainder_z
      - .offset:         72
        .size:           8
        .value_kind:     hidden_global_offset_x
      - .offset:         80
        .size:           8
        .value_kind:     hidden_global_offset_y
      - .offset:         88
        .size:           8
        .value_kind:     hidden_global_offset_z
      - .offset:         96
        .size:           2
        .value_kind:     hidden_grid_dims
    .group_segment_fixed_size: 0
    .kernarg_segment_align: 8
    .kernarg_segment_size: 288
    .language:       OpenCL C
    .language_version:
      - 2
      - 0
    .max_flat_workgroup_size: 128
    .name:           _ZN7rocprim17ROCPRIM_304000_NS6detail16transform_kernelINS1_24wrapped_transform_configINS0_14default_configEN2at4cuda3cub6detail10OpaqueTypeILi4EEEEESA_PKSA_PSA_NS0_8identityISA_EEEEvT1_mT2_T3_
    .private_segment_fixed_size: 0
    .sgpr_count:     18
    .sgpr_spill_count: 0
    .symbol:         _ZN7rocprim17ROCPRIM_304000_NS6detail16transform_kernelINS1_24wrapped_transform_configINS0_14default_configEN2at4cuda3cub6detail10OpaqueTypeILi4EEEEESA_PKSA_PSA_NS0_8identityISA_EEEEvT1_mT2_T3_.kd
    .uniform_work_group_size: 1
    .uses_dynamic_stack: false
    .vgpr_count:     6
    .vgpr_spill_count: 0
    .wavefront_size: 64
  - .agpr_count:     0
    .args:
      - .address_space:  global
        .offset:         0
        .size:           8
        .value_kind:     global_buffer
      - .address_space:  global
        .offset:         8
        .size:           8
        .value_kind:     global_buffer
      - .address_space:  global
        .offset:         16
        .size:           8
        .value_kind:     global_buffer
      - .address_space:  global
        .offset:         24
        .size:           8
        .value_kind:     global_buffer
      - .offset:         32
        .size:           4
        .value_kind:     by_value
      - .address_space:  global
        .offset:         40
        .size:           8
        .value_kind:     global_buffer
      - .address_space:  global
        .offset:         48
        .size:           8
        .value_kind:     global_buffer
      - .address_space:  global
        .offset:         56
        .size:           8
        .value_kind:     global_buffer
      - .offset:         64
        .size:           1
        .value_kind:     by_value
      - .offset:         68
        .size:           4
        .value_kind:     by_value
      - .offset:         72
        .size:           4
        .value_kind:     by_value
      - .offset:         76
        .size:           4
        .value_kind:     by_value
      - .offset:         80
        .size:           4
        .value_kind:     hidden_block_count_x
      - .offset:         84
        .size:           4
        .value_kind:     hidden_block_count_y
      - .offset:         88
        .size:           4
        .value_kind:     hidden_block_count_z
      - .offset:         92
        .size:           2
        .value_kind:     hidden_group_size_x
      - .offset:         94
        .size:           2
        .value_kind:     hidden_group_size_y
      - .offset:         96
        .size:           2
        .value_kind:     hidden_group_size_z
      - .offset:         98
        .size:           2
        .value_kind:     hidden_remainder_x
      - .offset:         100
        .size:           2
        .value_kind:     hidden_remainder_y
      - .offset:         102
        .size:           2
        .value_kind:     hidden_remainder_z
      - .offset:         120
        .size:           8
        .value_kind:     hidden_global_offset_x
      - .offset:         128
        .size:           8
        .value_kind:     hidden_global_offset_y
      - .offset:         136
        .size:           8
        .value_kind:     hidden_global_offset_z
      - .offset:         144
        .size:           2
        .value_kind:     hidden_grid_dims
    .group_segment_fixed_size: 24832
    .kernarg_segment_align: 8
    .kernarg_segment_size: 336
    .language:       OpenCL C
    .language_version:
      - 2
      - 0
    .max_flat_workgroup_size: 512
    .name:           _ZN7rocprim17ROCPRIM_304000_NS6detail25onesweep_iteration_kernelINS1_34wrapped_radix_sort_onesweep_configINS0_14default_configEiN2at4cuda3cub6detail10OpaqueTypeILi4EEEEELb1EPKiPiPKSA_PSA_mNS0_19identity_decomposerEEEvT1_T2_T3_T4_jPT5_SO_PNS1_23onesweep_lookback_stateET6_jjj
    .private_segment_fixed_size: 0
    .sgpr_count:     82
    .sgpr_spill_count: 0
    .symbol:         _ZN7rocprim17ROCPRIM_304000_NS6detail25onesweep_iteration_kernelINS1_34wrapped_radix_sort_onesweep_configINS0_14default_configEiN2at4cuda3cub6detail10OpaqueTypeILi4EEEEELb1EPKiPiPKSA_PSA_mNS0_19identity_decomposerEEEvT1_T2_T3_T4_jPT5_SO_PNS1_23onesweep_lookback_stateET6_jjj.kd
    .uniform_work_group_size: 1
    .uses_dynamic_stack: false
    .vgpr_count:     65
    .vgpr_spill_count: 0
    .wavefront_size: 64
  - .agpr_count:     0
    .args:
      - .address_space:  global
        .offset:         0
        .size:           8
        .value_kind:     global_buffer
      - .address_space:  global
        .offset:         8
        .size:           8
        .value_kind:     global_buffer
      - .address_space:  global
        .offset:         16
        .size:           8
        .value_kind:     global_buffer
      - .address_space:  global
        .offset:         24
        .size:           8
        .value_kind:     global_buffer
      - .offset:         32
        .size:           4
        .value_kind:     by_value
      - .address_space:  global
        .offset:         40
        .size:           8
        .value_kind:     global_buffer
      - .address_space:  global
        .offset:         48
        .size:           8
        .value_kind:     global_buffer
      - .address_space:  global
        .offset:         56
        .size:           8
        .value_kind:     global_buffer
      - .offset:         64
        .size:           1
        .value_kind:     by_value
      - .offset:         68
        .size:           4
        .value_kind:     by_value
      - .offset:         72
        .size:           4
        .value_kind:     by_value
      - .offset:         76
        .size:           4
        .value_kind:     by_value
      - .offset:         80
        .size:           4
        .value_kind:     hidden_block_count_x
      - .offset:         84
        .size:           4
        .value_kind:     hidden_block_count_y
      - .offset:         88
        .size:           4
        .value_kind:     hidden_block_count_z
      - .offset:         92
        .size:           2
        .value_kind:     hidden_group_size_x
      - .offset:         94
        .size:           2
        .value_kind:     hidden_group_size_y
      - .offset:         96
        .size:           2
        .value_kind:     hidden_group_size_z
      - .offset:         98
        .size:           2
        .value_kind:     hidden_remainder_x
      - .offset:         100
        .size:           2
        .value_kind:     hidden_remainder_y
      - .offset:         102
        .size:           2
        .value_kind:     hidden_remainder_z
      - .offset:         120
        .size:           8
        .value_kind:     hidden_global_offset_x
      - .offset:         128
        .size:           8
        .value_kind:     hidden_global_offset_y
      - .offset:         136
        .size:           8
        .value_kind:     hidden_global_offset_z
      - .offset:         144
        .size:           2
        .value_kind:     hidden_grid_dims
    .group_segment_fixed_size: 24832
    .kernarg_segment_align: 8
    .kernarg_segment_size: 336
    .language:       OpenCL C
    .language_version:
      - 2
      - 0
    .max_flat_workgroup_size: 512
    .name:           _ZN7rocprim17ROCPRIM_304000_NS6detail25onesweep_iteration_kernelINS1_34wrapped_radix_sort_onesweep_configINS0_14default_configEiN2at4cuda3cub6detail10OpaqueTypeILi4EEEEELb1EPiSC_PSA_SD_mNS0_19identity_decomposerEEEvT1_T2_T3_T4_jPT5_SK_PNS1_23onesweep_lookback_stateET6_jjj
    .private_segment_fixed_size: 0
    .sgpr_count:     82
    .sgpr_spill_count: 0
    .symbol:         _ZN7rocprim17ROCPRIM_304000_NS6detail25onesweep_iteration_kernelINS1_34wrapped_radix_sort_onesweep_configINS0_14default_configEiN2at4cuda3cub6detail10OpaqueTypeILi4EEEEELb1EPiSC_PSA_SD_mNS0_19identity_decomposerEEEvT1_T2_T3_T4_jPT5_SK_PNS1_23onesweep_lookback_stateET6_jjj.kd
    .uniform_work_group_size: 1
    .uses_dynamic_stack: false
    .vgpr_count:     65
    .vgpr_spill_count: 0
    .wavefront_size: 64
  - .agpr_count:     0
    .args:
      - .address_space:  global
        .offset:         0
        .size:           8
        .value_kind:     global_buffer
      - .address_space:  global
        .offset:         8
        .size:           8
        .value_kind:     global_buffer
      - .address_space:  global
        .offset:         16
        .size:           8
        .value_kind:     global_buffer
      - .address_space:  global
        .offset:         24
        .size:           8
        .value_kind:     global_buffer
      - .offset:         32
        .size:           4
        .value_kind:     by_value
      - .offset:         36
        .size:           1
        .value_kind:     by_value
      - .offset:         40
        .size:           4
        .value_kind:     by_value
      - .offset:         44
        .size:           4
        .value_kind:     by_value
      - .offset:         48
        .size:           4
        .value_kind:     hidden_block_count_x
      - .offset:         52
        .size:           4
        .value_kind:     hidden_block_count_y
      - .offset:         56
        .size:           4
        .value_kind:     hidden_block_count_z
      - .offset:         60
        .size:           2
        .value_kind:     hidden_group_size_x
      - .offset:         62
        .size:           2
        .value_kind:     hidden_group_size_y
      - .offset:         64
        .size:           2
        .value_kind:     hidden_group_size_z
      - .offset:         66
        .size:           2
        .value_kind:     hidden_remainder_x
      - .offset:         68
        .size:           2
        .value_kind:     hidden_remainder_y
      - .offset:         70
        .size:           2
        .value_kind:     hidden_remainder_z
      - .offset:         88
        .size:           8
        .value_kind:     hidden_global_offset_x
      - .offset:         96
        .size:           8
        .value_kind:     hidden_global_offset_y
      - .offset:         104
        .size:           8
        .value_kind:     hidden_global_offset_z
      - .offset:         112
        .size:           2
        .value_kind:     hidden_grid_dims
    .group_segment_fixed_size: 4112
    .kernarg_segment_align: 8
    .kernarg_segment_size: 304
    .language:       OpenCL C
    .language_version:
      - 2
      - 0
    .max_flat_workgroup_size: 256
    .name:           _ZN7rocprim17ROCPRIM_304000_NS6detail28radix_sort_block_sort_kernelINS1_36wrapped_radix_sort_block_sort_configINS0_13kernel_configILj256ELj4ELj4294967295EEEiN2at4cuda3cub6detail10OpaqueTypeILi4EEEEELb0EPKiPiPKSB_PSB_NS0_19identity_decomposerEEEvT1_T2_T3_T4_jT5_jj
    .private_segment_fixed_size: 0
    .sgpr_count:     50
    .sgpr_spill_count: 0
    .symbol:         _ZN7rocprim17ROCPRIM_304000_NS6detail28radix_sort_block_sort_kernelINS1_36wrapped_radix_sort_block_sort_configINS0_13kernel_configILj256ELj4ELj4294967295EEEiN2at4cuda3cub6detail10OpaqueTypeILi4EEEEELb0EPKiPiPKSB_PSB_NS0_19identity_decomposerEEEvT1_T2_T3_T4_jT5_jj.kd
    .uniform_work_group_size: 1
    .uses_dynamic_stack: false
    .vgpr_count:     40
    .vgpr_spill_count: 0
    .wavefront_size: 64
  - .agpr_count:     0
    .args:
      - .address_space:  global
        .offset:         0
        .size:           8
        .value_kind:     global_buffer
      - .offset:         8
        .size:           4
        .value_kind:     by_value
      - .offset:         12
        .size:           4
        .value_kind:     by_value
      - .address_space:  global
        .offset:         16
        .size:           8
        .value_kind:     global_buffer
      - .offset:         24
        .size:           1
        .value_kind:     by_value
      - .offset:         28
        .size:           4
        .value_kind:     by_value
    .group_segment_fixed_size: 0
    .kernarg_segment_align: 8
    .kernarg_segment_size: 32
    .language:       OpenCL C
    .language_version:
      - 2
      - 0
    .max_flat_workgroup_size: 128
    .name:           _ZN7rocprim17ROCPRIM_304000_NS6detail45device_block_merge_mergepath_partition_kernelINS1_37wrapped_merge_sort_block_merge_configINS0_14default_configEiN2at4cuda3cub6detail10OpaqueTypeILi4EEEEEPijNS1_19radix_merge_compareILb0ELb0EiNS0_19identity_decomposerEEEEEvT0_T1_jPSH_T2_SH_
    .private_segment_fixed_size: 0
    .sgpr_count:     12
    .sgpr_spill_count: 0
    .symbol:         _ZN7rocprim17ROCPRIM_304000_NS6detail45device_block_merge_mergepath_partition_kernelINS1_37wrapped_merge_sort_block_merge_configINS0_14default_configEiN2at4cuda3cub6detail10OpaqueTypeILi4EEEEEPijNS1_19radix_merge_compareILb0ELb0EiNS0_19identity_decomposerEEEEEvT0_T1_jPSH_T2_SH_.kd
    .uniform_work_group_size: 1
    .uses_dynamic_stack: false
    .vgpr_count:     17
    .vgpr_spill_count: 0
    .wavefront_size: 64
  - .agpr_count:     0
    .args:
      - .address_space:  global
        .offset:         0
        .size:           8
        .value_kind:     global_buffer
      - .address_space:  global
        .offset:         8
        .size:           8
        .value_kind:     global_buffer
      - .address_space:  global
        .offset:         16
        .size:           8
        .value_kind:     global_buffer
      - .address_space:  global
        .offset:         24
        .size:           8
        .value_kind:     global_buffer
      - .offset:         32
        .size:           4
        .value_kind:     by_value
      - .offset:         36
        .size:           4
        .value_kind:     by_value
      - .offset:         40
        .size:           4
        .value_kind:     by_value
      - .offset:         44
        .size:           1
        .value_kind:     by_value
      - .address_space:  global
        .offset:         48
        .size:           8
        .value_kind:     global_buffer
      - .address_space:  global
        .offset:         56
        .size:           8
        .value_kind:     global_buffer
      - .offset:         64
        .size:           4
        .value_kind:     hidden_block_count_x
      - .offset:         68
        .size:           4
        .value_kind:     hidden_block_count_y
      - .offset:         72
        .size:           4
        .value_kind:     hidden_block_count_z
      - .offset:         76
        .size:           2
        .value_kind:     hidden_group_size_x
      - .offset:         78
        .size:           2
        .value_kind:     hidden_group_size_y
      - .offset:         80
        .size:           2
        .value_kind:     hidden_group_size_z
      - .offset:         82
        .size:           2
        .value_kind:     hidden_remainder_x
      - .offset:         84
        .size:           2
        .value_kind:     hidden_remainder_y
      - .offset:         86
        .size:           2
        .value_kind:     hidden_remainder_z
      - .offset:         104
        .size:           8
        .value_kind:     hidden_global_offset_x
      - .offset:         112
        .size:           8
        .value_kind:     hidden_global_offset_y
      - .offset:         120
        .size:           8
        .value_kind:     hidden_global_offset_z
      - .offset:         128
        .size:           2
        .value_kind:     hidden_grid_dims
    .group_segment_fixed_size: 4224
    .kernarg_segment_align: 8
    .kernarg_segment_size: 320
    .language:       OpenCL C
    .language_version:
      - 2
      - 0
    .max_flat_workgroup_size: 256
    .name:           _ZN7rocprim17ROCPRIM_304000_NS6detail35device_block_merge_mergepath_kernelINS1_37wrapped_merge_sort_block_merge_configINS0_14default_configEiN2at4cuda3cub6detail10OpaqueTypeILi4EEEEEPiSC_PSA_SD_jNS1_19radix_merge_compareILb0ELb0EiNS0_19identity_decomposerEEEEEvT0_T1_T2_T3_T4_SL_jT5_PKSL_NS1_7vsmem_tE
    .private_segment_fixed_size: 0
    .sgpr_count:     42
    .sgpr_spill_count: 0
    .symbol:         _ZN7rocprim17ROCPRIM_304000_NS6detail35device_block_merge_mergepath_kernelINS1_37wrapped_merge_sort_block_merge_configINS0_14default_configEiN2at4cuda3cub6detail10OpaqueTypeILi4EEEEEPiSC_PSA_SD_jNS1_19radix_merge_compareILb0ELb0EiNS0_19identity_decomposerEEEEEvT0_T1_T2_T3_T4_SL_jT5_PKSL_NS1_7vsmem_tE.kd
    .uniform_work_group_size: 1
    .uses_dynamic_stack: false
    .vgpr_count:     21
    .vgpr_spill_count: 0
    .wavefront_size: 64
  - .agpr_count:     0
    .args:
      - .address_space:  global
        .offset:         0
        .size:           8
        .value_kind:     global_buffer
      - .address_space:  global
        .offset:         8
        .size:           8
        .value_kind:     global_buffer
      - .address_space:  global
        .offset:         16
        .size:           8
        .value_kind:     global_buffer
      - .address_space:  global
        .offset:         24
        .size:           8
        .value_kind:     global_buffer
      - .offset:         32
        .size:           4
        .value_kind:     by_value
      - .offset:         36
        .size:           4
        .value_kind:     by_value
      - .offset:         40
        .size:           1
        .value_kind:     by_value
    .group_segment_fixed_size: 0
    .kernarg_segment_align: 8
    .kernarg_segment_size: 44
    .language:       OpenCL C
    .language_version:
      - 2
      - 0
    .max_flat_workgroup_size: 256
    .name:           _ZN7rocprim17ROCPRIM_304000_NS6detail33device_block_merge_oddeven_kernelINS1_37wrapped_merge_sort_block_merge_configINS0_14default_configEiN2at4cuda3cub6detail10OpaqueTypeILi4EEEEEPiSC_PSA_SD_jNS1_19radix_merge_compareILb0ELb0EiNS0_19identity_decomposerEEEEEvT0_T1_T2_T3_T4_SL_T5_
    .private_segment_fixed_size: 0
    .sgpr_count:     28
    .sgpr_spill_count: 0
    .symbol:         _ZN7rocprim17ROCPRIM_304000_NS6detail33device_block_merge_oddeven_kernelINS1_37wrapped_merge_sort_block_merge_configINS0_14default_configEiN2at4cuda3cub6detail10OpaqueTypeILi4EEEEEPiSC_PSA_SD_jNS1_19radix_merge_compareILb0ELb0EiNS0_19identity_decomposerEEEEEvT0_T1_T2_T3_T4_SL_T5_.kd
    .uniform_work_group_size: 1
    .uses_dynamic_stack: false
    .vgpr_count:     10
    .vgpr_spill_count: 0
    .wavefront_size: 64
  - .agpr_count:     0
    .args:
      - .address_space:  global
        .offset:         0
        .size:           8
        .value_kind:     global_buffer
      - .offset:         8
        .size:           4
        .value_kind:     by_value
      - .offset:         12
        .size:           4
        .value_kind:     by_value
      - .address_space:  global
        .offset:         16
        .size:           8
        .value_kind:     global_buffer
      - .offset:         24
        .size:           4
        .value_kind:     by_value
      - .offset:         28
        .size:           4
        .value_kind:     by_value
    .group_segment_fixed_size: 0
    .kernarg_segment_align: 8
    .kernarg_segment_size: 32
    .language:       OpenCL C
    .language_version:
      - 2
      - 0
    .max_flat_workgroup_size: 128
    .name:           _ZN7rocprim17ROCPRIM_304000_NS6detail45device_block_merge_mergepath_partition_kernelINS1_37wrapped_merge_sort_block_merge_configINS0_14default_configEiN2at4cuda3cub6detail10OpaqueTypeILi4EEEEEPijNS1_19radix_merge_compareILb0ELb1EiNS0_19identity_decomposerEEEEEvT0_T1_jPSH_T2_SH_
    .private_segment_fixed_size: 0
    .sgpr_count:     14
    .sgpr_spill_count: 0
    .symbol:         _ZN7rocprim17ROCPRIM_304000_NS6detail45device_block_merge_mergepath_partition_kernelINS1_37wrapped_merge_sort_block_merge_configINS0_14default_configEiN2at4cuda3cub6detail10OpaqueTypeILi4EEEEEPijNS1_19radix_merge_compareILb0ELb1EiNS0_19identity_decomposerEEEEEvT0_T1_jPSH_T2_SH_.kd
    .uniform_work_group_size: 1
    .uses_dynamic_stack: false
    .vgpr_count:     17
    .vgpr_spill_count: 0
    .wavefront_size: 64
  - .agpr_count:     0
    .args:
      - .address_space:  global
        .offset:         0
        .size:           8
        .value_kind:     global_buffer
      - .address_space:  global
        .offset:         8
        .size:           8
        .value_kind:     global_buffer
      - .address_space:  global
        .offset:         16
        .size:           8
        .value_kind:     global_buffer
      - .address_space:  global
        .offset:         24
        .size:           8
        .value_kind:     global_buffer
      - .offset:         32
        .size:           4
        .value_kind:     by_value
      - .offset:         36
        .size:           4
        .value_kind:     by_value
      - .offset:         40
        .size:           4
        .value_kind:     by_value
      - .offset:         44
        .size:           4
        .value_kind:     by_value
      - .address_space:  global
        .offset:         48
        .size:           8
        .value_kind:     global_buffer
      - .address_space:  global
        .offset:         56
        .size:           8
        .value_kind:     global_buffer
      - .offset:         64
        .size:           4
        .value_kind:     hidden_block_count_x
      - .offset:         68
        .size:           4
        .value_kind:     hidden_block_count_y
      - .offset:         72
        .size:           4
        .value_kind:     hidden_block_count_z
      - .offset:         76
        .size:           2
        .value_kind:     hidden_group_size_x
      - .offset:         78
        .size:           2
        .value_kind:     hidden_group_size_y
      - .offset:         80
        .size:           2
        .value_kind:     hidden_group_size_z
      - .offset:         82
        .size:           2
        .value_kind:     hidden_remainder_x
      - .offset:         84
        .size:           2
        .value_kind:     hidden_remainder_y
      - .offset:         86
        .size:           2
        .value_kind:     hidden_remainder_z
      - .offset:         104
        .size:           8
        .value_kind:     hidden_global_offset_x
      - .offset:         112
        .size:           8
        .value_kind:     hidden_global_offset_y
      - .offset:         120
        .size:           8
        .value_kind:     hidden_global_offset_z
      - .offset:         128
        .size:           2
        .value_kind:     hidden_grid_dims
    .group_segment_fixed_size: 4224
    .kernarg_segment_align: 8
    .kernarg_segment_size: 320
    .language:       OpenCL C
    .language_version:
      - 2
      - 0
    .max_flat_workgroup_size: 256
    .name:           _ZN7rocprim17ROCPRIM_304000_NS6detail35device_block_merge_mergepath_kernelINS1_37wrapped_merge_sort_block_merge_configINS0_14default_configEiN2at4cuda3cub6detail10OpaqueTypeILi4EEEEEPiSC_PSA_SD_jNS1_19radix_merge_compareILb0ELb1EiNS0_19identity_decomposerEEEEEvT0_T1_T2_T3_T4_SL_jT5_PKSL_NS1_7vsmem_tE
    .private_segment_fixed_size: 0
    .sgpr_count:     43
    .sgpr_spill_count: 0
    .symbol:         _ZN7rocprim17ROCPRIM_304000_NS6detail35device_block_merge_mergepath_kernelINS1_37wrapped_merge_sort_block_merge_configINS0_14default_configEiN2at4cuda3cub6detail10OpaqueTypeILi4EEEEEPiSC_PSA_SD_jNS1_19radix_merge_compareILb0ELb1EiNS0_19identity_decomposerEEEEEvT0_T1_T2_T3_T4_SL_jT5_PKSL_NS1_7vsmem_tE.kd
    .uniform_work_group_size: 1
    .uses_dynamic_stack: false
    .vgpr_count:     21
    .vgpr_spill_count: 0
    .wavefront_size: 64
  - .agpr_count:     0
    .args:
      - .address_space:  global
        .offset:         0
        .size:           8
        .value_kind:     global_buffer
      - .address_space:  global
        .offset:         8
        .size:           8
        .value_kind:     global_buffer
      - .address_space:  global
        .offset:         16
        .size:           8
        .value_kind:     global_buffer
      - .address_space:  global
        .offset:         24
        .size:           8
        .value_kind:     global_buffer
      - .offset:         32
        .size:           4
        .value_kind:     by_value
      - .offset:         36
        .size:           4
        .value_kind:     by_value
      - .offset:         40
        .size:           4
        .value_kind:     by_value
    .group_segment_fixed_size: 0
    .kernarg_segment_align: 8
    .kernarg_segment_size: 44
    .language:       OpenCL C
    .language_version:
      - 2
      - 0
    .max_flat_workgroup_size: 256
    .name:           _ZN7rocprim17ROCPRIM_304000_NS6detail33device_block_merge_oddeven_kernelINS1_37wrapped_merge_sort_block_merge_configINS0_14default_configEiN2at4cuda3cub6detail10OpaqueTypeILi4EEEEEPiSC_PSA_SD_jNS1_19radix_merge_compareILb0ELb1EiNS0_19identity_decomposerEEEEEvT0_T1_T2_T3_T4_SL_T5_
    .private_segment_fixed_size: 0
    .sgpr_count:     30
    .sgpr_spill_count: 0
    .symbol:         _ZN7rocprim17ROCPRIM_304000_NS6detail33device_block_merge_oddeven_kernelINS1_37wrapped_merge_sort_block_merge_configINS0_14default_configEiN2at4cuda3cub6detail10OpaqueTypeILi4EEEEEPiSC_PSA_SD_jNS1_19radix_merge_compareILb0ELb1EiNS0_19identity_decomposerEEEEEvT0_T1_T2_T3_T4_SL_T5_.kd
    .uniform_work_group_size: 1
    .uses_dynamic_stack: false
    .vgpr_count:     11
    .vgpr_spill_count: 0
    .wavefront_size: 64
  - .agpr_count:     0
    .args:
      - .address_space:  global
        .offset:         0
        .size:           8
        .value_kind:     global_buffer
      - .address_space:  global
        .offset:         8
        .size:           8
        .value_kind:     global_buffer
      - .offset:         16
        .size:           8
        .value_kind:     by_value
      - .offset:         24
        .size:           8
        .value_kind:     by_value
      - .offset:         32
        .size:           1
        .value_kind:     by_value
      - .offset:         36
        .size:           4
        .value_kind:     by_value
      - .offset:         40
        .size:           4
        .value_kind:     by_value
    .group_segment_fixed_size: 3584
    .kernarg_segment_align: 8
    .kernarg_segment_size: 44
    .language:       OpenCL C
    .language_version:
      - 2
      - 0
    .max_flat_workgroup_size: 512
    .name:           _ZN7rocprim17ROCPRIM_304000_NS6detail26onesweep_histograms_kernelINS1_34wrapped_radix_sort_onesweep_configINS0_14default_configEiN2at4cuda3cub6detail10OpaqueTypeILi4EEEEELb0EPKimNS0_19identity_decomposerEEEvT1_PT2_SG_SG_T3_jj
    .private_segment_fixed_size: 0
    .sgpr_count:     48
    .sgpr_spill_count: 0
    .symbol:         _ZN7rocprim17ROCPRIM_304000_NS6detail26onesweep_histograms_kernelINS1_34wrapped_radix_sort_onesweep_configINS0_14default_configEiN2at4cuda3cub6detail10OpaqueTypeILi4EEEEELb0EPKimNS0_19identity_decomposerEEEvT1_PT2_SG_SG_T3_jj.kd
    .uniform_work_group_size: 1
    .uses_dynamic_stack: false
    .vgpr_count:     24
    .vgpr_spill_count: 0
    .wavefront_size: 64
  - .agpr_count:     0
    .args:
      - .address_space:  global
        .offset:         0
        .size:           8
        .value_kind:     global_buffer
      - .address_space:  global
        .offset:         8
        .size:           8
        .value_kind:     global_buffer
      - .address_space:  global
        .offset:         16
        .size:           8
        .value_kind:     global_buffer
      - .address_space:  global
        .offset:         24
        .size:           8
        .value_kind:     global_buffer
      - .offset:         32
        .size:           4
        .value_kind:     by_value
      - .address_space:  global
        .offset:         40
        .size:           8
        .value_kind:     global_buffer
      - .address_space:  global
        .offset:         48
        .size:           8
        .value_kind:     global_buffer
      - .address_space:  global
        .offset:         56
        .size:           8
        .value_kind:     global_buffer
      - .offset:         64
        .size:           1
        .value_kind:     by_value
      - .offset:         68
        .size:           4
        .value_kind:     by_value
      - .offset:         72
        .size:           4
        .value_kind:     by_value
      - .offset:         76
        .size:           4
        .value_kind:     by_value
      - .offset:         80
        .size:           4
        .value_kind:     hidden_block_count_x
      - .offset:         84
        .size:           4
        .value_kind:     hidden_block_count_y
      - .offset:         88
        .size:           4
        .value_kind:     hidden_block_count_z
      - .offset:         92
        .size:           2
        .value_kind:     hidden_group_size_x
      - .offset:         94
        .size:           2
        .value_kind:     hidden_group_size_y
      - .offset:         96
        .size:           2
        .value_kind:     hidden_group_size_z
      - .offset:         98
        .size:           2
        .value_kind:     hidden_remainder_x
      - .offset:         100
        .size:           2
        .value_kind:     hidden_remainder_y
      - .offset:         102
        .size:           2
        .value_kind:     hidden_remainder_z
      - .offset:         120
        .size:           8
        .value_kind:     hidden_global_offset_x
      - .offset:         128
        .size:           8
        .value_kind:     hidden_global_offset_y
      - .offset:         136
        .size:           8
        .value_kind:     hidden_global_offset_z
      - .offset:         144
        .size:           2
        .value_kind:     hidden_grid_dims
    .group_segment_fixed_size: 24832
    .kernarg_segment_align: 8
    .kernarg_segment_size: 336
    .language:       OpenCL C
    .language_version:
      - 2
      - 0
    .max_flat_workgroup_size: 512
    .name:           _ZN7rocprim17ROCPRIM_304000_NS6detail25onesweep_iteration_kernelINS1_34wrapped_radix_sort_onesweep_configINS0_14default_configEiN2at4cuda3cub6detail10OpaqueTypeILi4EEEEELb0EPKiPiPKSA_PSA_mNS0_19identity_decomposerEEEvT1_T2_T3_T4_jPT5_SO_PNS1_23onesweep_lookback_stateET6_jjj
    .private_segment_fixed_size: 0
    .sgpr_count:     82
    .sgpr_spill_count: 0
    .symbol:         _ZN7rocprim17ROCPRIM_304000_NS6detail25onesweep_iteration_kernelINS1_34wrapped_radix_sort_onesweep_configINS0_14default_configEiN2at4cuda3cub6detail10OpaqueTypeILi4EEEEELb0EPKiPiPKSA_PSA_mNS0_19identity_decomposerEEEvT1_T2_T3_T4_jPT5_SO_PNS1_23onesweep_lookback_stateET6_jjj.kd
    .uniform_work_group_size: 1
    .uses_dynamic_stack: false
    .vgpr_count:     65
    .vgpr_spill_count: 0
    .wavefront_size: 64
  - .agpr_count:     0
    .args:
      - .address_space:  global
        .offset:         0
        .size:           8
        .value_kind:     global_buffer
      - .address_space:  global
        .offset:         8
        .size:           8
        .value_kind:     global_buffer
      - .address_space:  global
        .offset:         16
        .size:           8
        .value_kind:     global_buffer
      - .address_space:  global
        .offset:         24
        .size:           8
        .value_kind:     global_buffer
      - .offset:         32
        .size:           4
        .value_kind:     by_value
      - .address_space:  global
        .offset:         40
        .size:           8
        .value_kind:     global_buffer
      - .address_space:  global
        .offset:         48
        .size:           8
        .value_kind:     global_buffer
      - .address_space:  global
        .offset:         56
        .size:           8
        .value_kind:     global_buffer
      - .offset:         64
        .size:           1
        .value_kind:     by_value
      - .offset:         68
        .size:           4
        .value_kind:     by_value
      - .offset:         72
        .size:           4
        .value_kind:     by_value
      - .offset:         76
        .size:           4
        .value_kind:     by_value
      - .offset:         80
        .size:           4
        .value_kind:     hidden_block_count_x
      - .offset:         84
        .size:           4
        .value_kind:     hidden_block_count_y
      - .offset:         88
        .size:           4
        .value_kind:     hidden_block_count_z
      - .offset:         92
        .size:           2
        .value_kind:     hidden_group_size_x
      - .offset:         94
        .size:           2
        .value_kind:     hidden_group_size_y
      - .offset:         96
        .size:           2
        .value_kind:     hidden_group_size_z
      - .offset:         98
        .size:           2
        .value_kind:     hidden_remainder_x
      - .offset:         100
        .size:           2
        .value_kind:     hidden_remainder_y
      - .offset:         102
        .size:           2
        .value_kind:     hidden_remainder_z
      - .offset:         120
        .size:           8
        .value_kind:     hidden_global_offset_x
      - .offset:         128
        .size:           8
        .value_kind:     hidden_global_offset_y
      - .offset:         136
        .size:           8
        .value_kind:     hidden_global_offset_z
      - .offset:         144
        .size:           2
        .value_kind:     hidden_grid_dims
    .group_segment_fixed_size: 24832
    .kernarg_segment_align: 8
    .kernarg_segment_size: 336
    .language:       OpenCL C
    .language_version:
      - 2
      - 0
    .max_flat_workgroup_size: 512
    .name:           _ZN7rocprim17ROCPRIM_304000_NS6detail25onesweep_iteration_kernelINS1_34wrapped_radix_sort_onesweep_configINS0_14default_configEiN2at4cuda3cub6detail10OpaqueTypeILi4EEEEELb0EPiSC_PSA_SD_mNS0_19identity_decomposerEEEvT1_T2_T3_T4_jPT5_SK_PNS1_23onesweep_lookback_stateET6_jjj
    .private_segment_fixed_size: 0
    .sgpr_count:     82
    .sgpr_spill_count: 0
    .symbol:         _ZN7rocprim17ROCPRIM_304000_NS6detail25onesweep_iteration_kernelINS1_34wrapped_radix_sort_onesweep_configINS0_14default_configEiN2at4cuda3cub6detail10OpaqueTypeILi4EEEEELb0EPiSC_PSA_SD_mNS0_19identity_decomposerEEEvT1_T2_T3_T4_jPT5_SK_PNS1_23onesweep_lookback_stateET6_jjj.kd
    .uniform_work_group_size: 1
    .uses_dynamic_stack: false
    .vgpr_count:     65
    .vgpr_spill_count: 0
    .wavefront_size: 64
amdhsa.target:   amdgcn-amd-amdhsa--gfx950
amdhsa.version:
  - 1
  - 2
...

	.end_amdgpu_metadata
